;; amdgpu-corpus repo=ROCm/rocFFT kind=compiled arch=gfx906 opt=O3
	.text
	.amdgcn_target "amdgcn-amd-amdhsa--gfx906"
	.amdhsa_code_object_version 6
	.protected	bluestein_single_back_len720_dim1_half_op_CI_CI ; -- Begin function bluestein_single_back_len720_dim1_half_op_CI_CI
	.globl	bluestein_single_back_len720_dim1_half_op_CI_CI
	.p2align	8
	.type	bluestein_single_back_len720_dim1_half_op_CI_CI,@function
bluestein_single_back_len720_dim1_half_op_CI_CI: ; @bluestein_single_back_len720_dim1_half_op_CI_CI
; %bb.0:
	s_load_dwordx4 s[0:3], s[4:5], 0x28
	v_mul_u32_u24_e32 v1, 0x223, v0
	v_lshrrev_b32_e32 v1, 16, v1
	v_lshl_add_u32 v7, s6, 1, v1
	v_mov_b32_e32 v8, 0
	s_waitcnt lgkmcnt(0)
	v_cmp_gt_u64_e32 vcc, s[0:1], v[7:8]
	s_and_saveexec_b64 s[0:1], vcc
	s_cbranch_execz .LBB0_23
; %bb.1:
	s_load_dwordx2 s[6:7], s[4:5], 0x0
	s_load_dwordx2 s[12:13], s[4:5], 0x38
	v_mul_lo_u16_e32 v2, 0x78, v1
	v_sub_u16_e32 v29, v0, v2
	v_and_b32_e32 v0, 1, v1
	v_mov_b32_e32 v1, 0x2d0
	v_cmp_eq_u32_e32 vcc, 1, v0
	v_cndmask_b32_e32 v30, 0, v1, vcc
	s_movk_i32 s0, 0x48
	v_cmp_gt_u16_e64 s[0:1], s0, v29
	v_lshlrev_b32_e32 v28, 2, v29
	v_lshlrev_b32_e32 v31, 2, v30
	s_and_saveexec_b64 s[8:9], s[0:1]
	s_cbranch_execz .LBB0_3
; %bb.2:
	s_load_dwordx2 s[10:11], s[4:5], 0x18
	s_waitcnt lgkmcnt(0)
	s_load_dwordx4 s[16:19], s[10:11], 0x0
	s_waitcnt lgkmcnt(0)
	v_mad_u64_u32 v[0:1], s[10:11], s18, v7, 0
	v_mad_u64_u32 v[2:3], s[10:11], s16, v29, 0
	v_mad_u64_u32 v[4:5], s[10:11], s19, v7, v[1:2]
	v_mad_u64_u32 v[5:6], s[10:11], s17, v29, v[3:4]
	v_mov_b32_e32 v1, v4
	v_lshlrev_b64 v[0:1], 2, v[0:1]
	v_mov_b32_e32 v3, v5
	v_mov_b32_e32 v6, s3
	v_lshlrev_b64 v[2:3], 2, v[2:3]
	v_add_co_u32_e32 v0, vcc, s2, v0
	v_addc_co_u32_e32 v1, vcc, v6, v1, vcc
	v_add_co_u32_e32 v0, vcc, v0, v2
	s_mul_i32 s2, s17, 0x120
	s_mul_hi_u32 s3, s16, 0x120
	v_addc_co_u32_e32 v1, vcc, v1, v3, vcc
	s_add_i32 s2, s3, s2
	s_mul_i32 s3, s16, 0x120
	global_load_dword v2, v[0:1], off
	global_load_dword v3, v28, s[6:7]
	v_mov_b32_e32 v4, s2
	v_add_co_u32_e32 v0, vcc, s3, v0
	v_addc_co_u32_e32 v1, vcc, v1, v4, vcc
	global_load_dword v4, v[0:1], off
	global_load_dword v5, v28, s[6:7] offset:288
	v_mov_b32_e32 v6, s2
	v_add_co_u32_e32 v0, vcc, s3, v0
	v_addc_co_u32_e32 v1, vcc, v1, v6, vcc
	global_load_dword v6, v[0:1], off
	global_load_dword v8, v28, s[6:7] offset:576
	;; [unrolled: 5-line block ×4, first 2 shown]
	v_mov_b32_e32 v13, s2
	v_add_co_u32_e32 v0, vcc, s3, v0
	v_addc_co_u32_e32 v1, vcc, v1, v13, vcc
	global_load_dword v13, v28, s[6:7] offset:1440
	global_load_dword v14, v[0:1], off
	v_mov_b32_e32 v15, s2
	v_add_co_u32_e32 v0, vcc, s3, v0
	v_addc_co_u32_e32 v1, vcc, v1, v15, vcc
	global_load_dword v15, v[0:1], off
	global_load_dword v16, v28, s[6:7] offset:1728
	global_load_dword v17, v28, s[6:7] offset:2016
	v_mov_b32_e32 v18, s2
	v_add_co_u32_e32 v0, vcc, s3, v0
	v_addc_co_u32_e32 v1, vcc, v1, v18, vcc
	global_load_dword v18, v[0:1], off
	v_mov_b32_e32 v19, s2
	v_add_co_u32_e32 v0, vcc, s3, v0
	v_addc_co_u32_e32 v1, vcc, v1, v19, vcc
	global_load_dword v19, v[0:1], off
	global_load_dword v20, v28, s[6:7] offset:2304
	v_mov_b32_e32 v21, s2
	v_add_co_u32_e32 v0, vcc, s3, v0
	v_addc_co_u32_e32 v1, vcc, v1, v21, vcc
	global_load_dword v21, v[0:1], off
	global_load_dword v22, v28, s[6:7] offset:2592
	v_lshl_add_u32 v0, v29, 2, v31
	s_waitcnt vmcnt(19)
	v_lshrrev_b32_e32 v1, 16, v2
	s_waitcnt vmcnt(18)
	v_mul_f16_sdwa v23, v3, v2 dst_sel:DWORD dst_unused:UNUSED_PAD src0_sel:WORD_1 src1_sel:DWORD
	v_fma_f16 v23, v3, v1, -v23
	v_mul_f16_sdwa v1, v3, v1 dst_sel:DWORD dst_unused:UNUSED_PAD src0_sel:WORD_1 src1_sel:DWORD
	v_fma_f16 v1, v3, v2, v1
	v_pack_b32_f16 v1, v1, v23
	s_waitcnt vmcnt(17)
	v_lshrrev_b32_e32 v24, 16, v4
	s_waitcnt vmcnt(16)
	v_mul_f16_sdwa v25, v5, v4 dst_sel:DWORD dst_unused:UNUSED_PAD src0_sel:WORD_1 src1_sel:DWORD
	v_fma_f16 v2, v5, v24, -v25
	v_mul_f16_sdwa v3, v5, v24 dst_sel:DWORD dst_unused:UNUSED_PAD src0_sel:WORD_1 src1_sel:DWORD
	ds_write_b32 v0, v1
	v_fma_f16 v3, v5, v4, v3
	s_waitcnt vmcnt(15)
	v_lshrrev_b32_e32 v24, 16, v6
	s_waitcnt vmcnt(14)
	v_mul_f16_sdwa v25, v8, v6 dst_sel:DWORD dst_unused:UNUSED_PAD src0_sel:WORD_1 src1_sel:DWORD
	v_mul_f16_sdwa v1, v8, v24 dst_sel:DWORD dst_unused:UNUSED_PAD src0_sel:WORD_1 src1_sel:DWORD
	v_fma_f16 v0, v8, v24, -v25
	v_fma_f16 v1, v8, v6, v1
	v_pack_b32_f16 v2, v3, v2
	s_waitcnt vmcnt(13)
	v_lshrrev_b32_e32 v4, 16, v9
	s_waitcnt vmcnt(12)
	v_mul_f16_sdwa v5, v10, v9 dst_sel:DWORD dst_unused:UNUSED_PAD src0_sel:WORD_1 src1_sel:DWORD
	v_add_u32_e32 v3, v31, v28
	v_pack_b32_f16 v0, v1, v0
	v_fma_f16 v5, v10, v4, -v5
	v_mul_f16_sdwa v4, v10, v4 dst_sel:DWORD dst_unused:UNUSED_PAD src0_sel:WORD_1 src1_sel:DWORD
	s_waitcnt vmcnt(11)
	v_lshrrev_b32_e32 v1, 16, v11
	ds_write2_b32 v3, v2, v0 offset0:72 offset1:144
	s_waitcnt vmcnt(10)
	v_mul_f16_sdwa v0, v12, v11 dst_sel:DWORD dst_unused:UNUSED_PAD src0_sel:WORD_1 src1_sel:DWORD
	v_mul_f16_sdwa v2, v12, v1 dst_sel:DWORD dst_unused:UNUSED_PAD src0_sel:WORD_1 src1_sel:DWORD
	v_fma_f16 v4, v10, v9, v4
	v_fma_f16 v0, v12, v1, -v0
	v_fma_f16 v1, v12, v11, v2
	v_pack_b32_f16 v2, v4, v5
	v_pack_b32_f16 v0, v1, v0
	v_add_u32_e32 v1, 0x200, v3
	ds_write2_b32 v1, v2, v0 offset0:88 offset1:160
	s_waitcnt vmcnt(8)
	v_lshrrev_b32_e32 v0, 16, v14
	v_mul_f16_sdwa v1, v13, v0 dst_sel:DWORD dst_unused:UNUSED_PAD src0_sel:WORD_1 src1_sel:DWORD
	v_mul_f16_sdwa v2, v13, v14 dst_sel:DWORD dst_unused:UNUSED_PAD src0_sel:WORD_1 src1_sel:DWORD
	v_fma_f16 v1, v13, v14, v1
	v_fma_f16 v0, v13, v0, -v2
	v_pack_b32_f16 v0, v1, v0
	s_waitcnt vmcnt(7)
	v_lshrrev_b32_e32 v1, 16, v15
	s_waitcnt vmcnt(6)
	v_mul_f16_sdwa v2, v16, v1 dst_sel:DWORD dst_unused:UNUSED_PAD src0_sel:WORD_1 src1_sel:DWORD
	v_mul_f16_sdwa v4, v16, v15 dst_sel:DWORD dst_unused:UNUSED_PAD src0_sel:WORD_1 src1_sel:DWORD
	v_fma_f16 v2, v16, v15, v2
	v_fma_f16 v1, v16, v1, -v4
	v_pack_b32_f16 v1, v2, v1
	v_add_u32_e32 v2, 0x400, v3
	ds_write2_b32 v2, v0, v1 offset0:104 offset1:176
	s_waitcnt vmcnt(4)
	v_lshrrev_b32_e32 v0, 16, v18
	v_mul_f16_sdwa v1, v17, v0 dst_sel:DWORD dst_unused:UNUSED_PAD src0_sel:WORD_1 src1_sel:DWORD
	v_mul_f16_sdwa v2, v17, v18 dst_sel:DWORD dst_unused:UNUSED_PAD src0_sel:WORD_1 src1_sel:DWORD
	v_fma_f16 v1, v17, v18, v1
	v_fma_f16 v0, v17, v0, -v2
	v_pack_b32_f16 v0, v1, v0
	s_waitcnt vmcnt(3)
	v_lshrrev_b32_e32 v1, 16, v19
	s_waitcnt vmcnt(2)
	v_mul_f16_sdwa v2, v20, v1 dst_sel:DWORD dst_unused:UNUSED_PAD src0_sel:WORD_1 src1_sel:DWORD
	v_mul_f16_sdwa v4, v20, v19 dst_sel:DWORD dst_unused:UNUSED_PAD src0_sel:WORD_1 src1_sel:DWORD
	v_fma_f16 v2, v20, v19, v2
	v_fma_f16 v1, v20, v1, -v4
	v_pack_b32_f16 v1, v2, v1
	v_add_u32_e32 v2, 0x600, v3
	ds_write2_b32 v2, v0, v1 offset0:120 offset1:192
	s_waitcnt vmcnt(1)
	v_lshrrev_b32_e32 v0, 16, v21
	s_waitcnt vmcnt(0)
	v_mul_f16_sdwa v1, v22, v0 dst_sel:DWORD dst_unused:UNUSED_PAD src0_sel:WORD_1 src1_sel:DWORD
	v_mul_f16_sdwa v2, v22, v21 dst_sel:DWORD dst_unused:UNUSED_PAD src0_sel:WORD_1 src1_sel:DWORD
	v_fma_f16 v1, v22, v21, v1
	v_fma_f16 v0, v22, v0, -v2
	v_pack_b32_f16 v0, v1, v0
	ds_write_b32 v3, v0 offset:2592
.LBB0_3:
	s_or_b64 exec, exec, s[8:9]
	s_load_dwordx2 s[8:9], s[4:5], 0x20
	s_load_dwordx2 s[2:3], s[4:5], 0x8
	s_waitcnt lgkmcnt(0)
	s_barrier
	s_waitcnt lgkmcnt(0)
                                        ; implicit-def: $vgpr5
                                        ; implicit-def: $vgpr3
                                        ; implicit-def: $vgpr1
                                        ; implicit-def: $vgpr13
                                        ; implicit-def: $vgpr11
	s_and_saveexec_b64 s[4:5], s[0:1]
	s_cbranch_execz .LBB0_5
; %bb.4:
	v_lshl_add_u32 v4, v30, 2, v28
	ds_read2_b32 v[10:11], v4 offset1:72
	ds_read2_b32 v[12:13], v4 offset0:144 offset1:216
	v_add_u32_e32 v2, 0x400, v4
	v_add_u32_e32 v4, 0x800, v4
	ds_read2_b32 v[0:1], v2 offset0:32 offset1:104
	ds_read2_b32 v[2:3], v2 offset0:176 offset1:248
	;; [unrolled: 1-line block ×3, first 2 shown]
.LBB0_5:
	s_or_b64 exec, exec, s[4:5]
	s_waitcnt lgkmcnt(1)
	v_add_f16_e32 v6, v2, v0
	v_fma_f16 v8, v6, -0.5, v10
	s_waitcnt lgkmcnt(0)
	v_sub_f16_sdwa v9, v12, v4 dst_sel:DWORD dst_unused:UNUSED_PAD src0_sel:WORD_1 src1_sel:WORD_1
	s_movk_i32 s4, 0x3b9c
	s_mov_b32 s11, 0xbb9c
	v_fma_f16 v6, v9, s4, v8
	v_sub_f16_sdwa v14, v0, v2 dst_sel:DWORD dst_unused:UNUSED_PAD src0_sel:WORD_1 src1_sel:WORD_1
	v_sub_f16_e32 v15, v12, v0
	v_sub_f16_e32 v16, v4, v2
	v_fma_f16 v8, v9, s11, v8
	s_mov_b32 s14, 0xb8b4
	v_add_f16_e32 v15, v16, v15
	s_movk_i32 s10, 0x34f2
	v_fma_f16 v8, v14, s14, v8
	s_movk_i32 s5, 0x38b4
	v_fma_f16 v16, v15, s10, v8
	v_add_f16_e32 v8, v4, v12
	v_fma_f16 v6, v14, s5, v6
	v_fma_f16 v8, v8, -0.5, v10
	v_fma_f16 v6, v15, s10, v6
	v_fma_f16 v15, v14, s11, v8
	v_sub_f16_e32 v17, v0, v12
	v_sub_f16_e32 v18, v2, v4
	v_fma_f16 v8, v14, s4, v8
	v_fma_f16 v15, v9, s5, v15
	v_add_f16_e32 v18, v18, v17
	v_fma_f16 v8, v9, s14, v8
	v_fma_f16 v17, v18, s10, v15
	;; [unrolled: 1-line block ×3, first 2 shown]
	v_add_f16_sdwa v8, v2, v0 dst_sel:DWORD dst_unused:UNUSED_PAD src0_sel:WORD_1 src1_sel:WORD_1
	v_lshrrev_b32_e32 v9, 16, v10
	v_fma_f16 v8, v8, -0.5, v9
	v_sub_f16_e32 v14, v12, v4
	v_sub_f16_sdwa v15, v12, v0 dst_sel:DWORD dst_unused:UNUSED_PAD src0_sel:WORD_1 src1_sel:WORD_1
	v_sub_f16_sdwa v19, v4, v2 dst_sel:DWORD dst_unused:UNUSED_PAD src0_sel:WORD_1 src1_sel:WORD_1
	v_add_f16_e32 v15, v19, v15
	v_fma_f16 v19, v14, s11, v8
	v_sub_f16_e32 v21, v0, v2
	v_fma_f16 v8, v14, s4, v8
	v_fma_f16 v8, v21, s5, v8
	;; [unrolled: 1-line block ×4, first 2 shown]
	v_add_f16_sdwa v8, v4, v12 dst_sel:DWORD dst_unused:UNUSED_PAD src0_sel:WORD_1 src1_sel:WORD_1
	v_fma_f16 v19, v15, s10, v19
	v_fma_f16 v8, v8, -0.5, v9
	v_sub_f16_sdwa v9, v0, v12 dst_sel:DWORD dst_unused:UNUSED_PAD src0_sel:WORD_1 src1_sel:WORD_1
	v_sub_f16_sdwa v15, v2, v4 dst_sel:DWORD dst_unused:UNUSED_PAD src0_sel:WORD_1 src1_sel:WORD_1
	v_add_f16_e32 v9, v15, v9
	v_fma_f16 v15, v21, s4, v8
	v_fma_f16 v8, v21, s11, v8
	;; [unrolled: 1-line block ×6, first 2 shown]
	v_sub_f16_e32 v8, v13, v1
	v_sub_f16_e32 v9, v5, v3
	v_add_f16_e32 v8, v9, v8
	v_add_f16_e32 v9, v3, v1
	v_fma_f16 v9, v9, -0.5, v11
	v_sub_f16_sdwa v14, v13, v5 dst_sel:DWORD dst_unused:UNUSED_PAD src0_sel:WORD_1 src1_sel:WORD_1
	v_fma_f16 v15, v14, s4, v9
	v_sub_f16_sdwa v23, v1, v3 dst_sel:DWORD dst_unused:UNUSED_PAD src0_sel:WORD_1 src1_sel:WORD_1
	v_fma_f16 v9, v14, s11, v9
	v_fma_f16 v15, v23, s5, v15
	;; [unrolled: 1-line block ×5, first 2 shown]
	v_sub_f16_e32 v9, v1, v13
	v_sub_f16_e32 v24, v3, v5
	v_add_f16_e32 v9, v24, v9
	v_add_f16_e32 v24, v5, v13
	v_fma_f16 v24, v24, -0.5, v11
	v_fma_f16 v25, v23, s11, v24
	v_fma_f16 v23, v23, s4, v24
	;; [unrolled: 1-line block ×6, first 2 shown]
	v_sub_f16_sdwa v14, v13, v1 dst_sel:DWORD dst_unused:UNUSED_PAD src0_sel:WORD_1 src1_sel:WORD_1
	v_sub_f16_sdwa v23, v5, v3 dst_sel:DWORD dst_unused:UNUSED_PAD src0_sel:WORD_1 src1_sel:WORD_1
	v_add_f16_e32 v14, v23, v14
	v_add_f16_sdwa v23, v3, v1 dst_sel:DWORD dst_unused:UNUSED_PAD src0_sel:WORD_1 src1_sel:WORD_1
	v_lshrrev_b32_e32 v25, 16, v11
	v_fma_f16 v23, v23, -0.5, v25
	v_sub_f16_e32 v26, v13, v5
	v_fma_f16 v27, v26, s11, v23
	v_sub_f16_e32 v32, v1, v3
	v_fma_f16 v23, v26, s4, v23
	v_fma_f16 v27, v32, s14, v27
	;; [unrolled: 1-line block ×5, first 2 shown]
	v_add_f16_sdwa v23, v5, v13 dst_sel:DWORD dst_unused:UNUSED_PAD src0_sel:WORD_1 src1_sel:WORD_1
	v_fma_f16 v23, v23, -0.5, v25
	v_sub_f16_sdwa v25, v1, v13 dst_sel:DWORD dst_unused:UNUSED_PAD src0_sel:WORD_1 src1_sel:WORD_1
	v_sub_f16_sdwa v33, v3, v5 dst_sel:DWORD dst_unused:UNUSED_PAD src0_sel:WORD_1 src1_sel:WORD_1
	v_add_f16_e32 v25, v33, v25
	v_fma_f16 v33, v32, s4, v23
	v_fma_f16 v23, v32, s11, v23
	;; [unrolled: 1-line block ×6, first 2 shown]
	s_movk_i32 s15, 0x3a79
	v_mul_f16_e32 v23, 0x38b4, v27
	v_fma_f16 v23, v15, s15, v23
	v_mul_f16_e32 v15, 0xb8b4, v15
	v_fma_f16 v27, v27, s15, v15
	;; [unrolled: 2-line block ×4, first 2 shown]
	v_mul_f16_e32 v15, 0x34f2, v9
	v_fma_f16 v32, v25, s4, -v15
	v_mul_f16_e32 v15, 0x34f2, v25
	v_fma_f16 v36, v9, s11, -v15
	;; [unrolled: 2-line block ×4, first 2 shown]
	v_sub_f16_e32 v14, v6, v23
	v_sub_f16_e32 v15, v17, v26
	;; [unrolled: 1-line block ×8, first 2 shown]
	v_mul_lo_u16_e32 v34, 10, v29
	s_barrier
	s_and_saveexec_b64 s[4:5], s[0:1]
	s_cbranch_execz .LBB0_7
; %bb.6:
	v_pk_add_f16 v10, v12, v10
	v_pk_add_f16 v0, v0, v10
	;; [unrolled: 1-line block ×7, first 2 shown]
	v_add_f16_e32 v12, v20, v37
	v_add_f16_e32 v13, v22, v36
	;; [unrolled: 1-line block ×7, first 2 shown]
	v_pk_add_f16 v5, v5, v0
	v_add_f16_e32 v16, v16, v35
	v_add_lshl_u32 v21, v30, v34, 2
	v_pk_add_f16 v0, v5, v4
	v_pack_b32_f16 v3, v18, v13
	v_pack_b32_f16 v2, v17, v20
	;; [unrolled: 1-line block ×3, first 2 shown]
	s_mov_b32 s10, 0x5040100
	ds_write2_b64 v21, v[0:1], v[2:3] offset1:1
	v_pk_add_f16 v1, v4, v5 neg_lo:[0,1] neg_hi:[0,1]
	v_perm_b32 v3, v25, v15, s10
	v_perm_b32 v2, v24, v14, s10
	v_pack_b32_f16 v0, v16, v12
	ds_write2_b64 v21, v[0:1], v[2:3] offset0:2 offset1:3
	v_perm_b32 v1, v39, v9, s10
	v_perm_b32 v0, v38, v8, s10
	ds_write_b64 v21, v[0:1] offset:32
.LBB0_7:
	s_or_b64 exec, exec, s[4:5]
	s_movk_i32 s4, 0xcd
	v_mul_lo_u16_sdwa v0, v29, s4 dst_sel:DWORD dst_unused:UNUSED_PAD src0_sel:BYTE_0 src1_sel:DWORD
	v_lshrrev_b16_e32 v18, 11, v0
	v_add_co_u32_e32 v16, vcc, 0x78, v29
	v_mul_lo_u16_e32 v0, 10, v18
	v_sub_u16_e32 v19, v29, v0
	v_mov_b32_e32 v0, 3
	v_mul_lo_u16_sdwa v2, v16, s4 dst_sel:DWORD dst_unused:UNUSED_PAD src0_sel:BYTE_0 src1_sel:DWORD
	v_lshlrev_b32_sdwa v1, v0, v19 dst_sel:DWORD dst_unused:UNUSED_PAD src0_sel:DWORD src1_sel:BYTE_0
	v_lshrrev_b16_e32 v20, 11, v2
	s_load_dwordx4 s[8:11], s[8:9], 0x0
	s_waitcnt lgkmcnt(0)
	s_barrier
	global_load_dwordx2 v[12:13], v1, s[2:3]
	v_mul_lo_u16_e32 v1, 10, v20
	v_sub_u16_e32 v35, v16, v1
	v_lshlrev_b32_sdwa v0, v0, v35 dst_sel:DWORD dst_unused:UNUSED_PAD src0_sel:DWORD src1_sel:BYTE_0
	global_load_dwordx2 v[10:11], v0, s[2:3]
	v_add_lshl_u32 v33, v30, v29, 2
	v_add_u32_e32 v0, 0x200, v33
	v_add_u32_e32 v5, 0x600, v33
	ds_read2_b32 v[1:2], v33 offset1:120
	ds_read2_b32 v[3:4], v0 offset0:112 offset1:232
	ds_read2_b32 v[5:6], v5 offset0:96 offset1:216
	v_mul_u32_u24_e32 v18, 30, v18
	v_add_u32_sdwa v18, v18, v19 dst_sel:DWORD dst_unused:UNUSED_PAD src0_sel:DWORD src1_sel:BYTE_0
	v_add_lshl_u32 v37, v30, v18, 2
	s_waitcnt lgkmcnt(1)
	v_lshrrev_b32_e32 v18, 16, v3
	s_waitcnt lgkmcnt(0)
	v_lshrrev_b32_e32 v21, 16, v5
	v_lshrrev_b32_e32 v22, 16, v4
	;; [unrolled: 1-line block ×4, first 2 shown]
	s_movk_i32 s14, 0x3aee
	s_mov_b32 s15, 0xbaee
	v_mul_u32_u24_e32 v36, 30, v20
	v_lshrrev_b32_e32 v20, 16, v2
	v_addc_co_u32_e64 v17, s[4:5], 0, 0, vcc
	s_waitcnt vmcnt(0)
	s_barrier
	s_movk_i32 s4, 0x5a
	v_cmp_gt_u16_e32 vcc, s4, v29
	v_mul_f16_sdwa v26, v18, v12 dst_sel:DWORD dst_unused:UNUSED_PAD src0_sel:DWORD src1_sel:WORD_1
	v_mul_f16_sdwa v27, v3, v12 dst_sel:DWORD dst_unused:UNUSED_PAD src0_sel:DWORD src1_sel:WORD_1
	;; [unrolled: 1-line block ×6, first 2 shown]
	v_fma_f16 v3, v3, v12, -v26
	v_fma_f16 v18, v18, v12, v27
	v_fma_f16 v5, v5, v13, -v32
	v_fma_f16 v21, v21, v13, v40
	v_mul_f16_sdwa v42, v4, v10 dst_sel:DWORD dst_unused:UNUSED_PAD src0_sel:DWORD src1_sel:WORD_1
	v_mul_f16_sdwa v44, v6, v11 dst_sel:DWORD dst_unused:UNUSED_PAD src0_sel:DWORD src1_sel:WORD_1
	v_fma_f16 v4, v4, v10, -v41
	v_fma_f16 v6, v6, v11, -v43
	v_add_f16_e32 v26, v1, v3
	v_add_f16_e32 v27, v3, v5
	;; [unrolled: 1-line block ×3, first 2 shown]
	v_fma_f16 v22, v22, v10, v42
	v_fma_f16 v23, v23, v11, v44
	v_sub_f16_e32 v40, v18, v21
	v_add_f16_e32 v32, v19, v18
	v_sub_f16_e32 v3, v3, v5
	v_add_f16_e32 v43, v4, v6
	v_add_f16_e32 v18, v26, v5
	v_fma_f16 v1, v27, -0.5, v1
	v_fma_f16 v5, v41, -0.5, v19
	v_add_f16_e32 v42, v2, v4
	v_sub_f16_e32 v44, v22, v23
	v_add_f16_e32 v45, v20, v22
	v_add_f16_e32 v22, v22, v23
	;; [unrolled: 1-line block ×3, first 2 shown]
	v_fma_f16 v2, v43, -0.5, v2
	v_fma_f16 v19, v40, s14, v1
	v_fma_f16 v27, v3, s15, v5
	v_sub_f16_e32 v4, v4, v6
	v_add_f16_e32 v21, v42, v6
	v_add_f16_e32 v32, v45, v23
	v_fma_f16 v6, v22, -0.5, v20
	v_fma_f16 v20, v40, s15, v1
	v_fma_f16 v41, v3, s14, v5
	;; [unrolled: 1-line block ×4, first 2 shown]
	v_pack_b32_f16 v1, v18, v26
	v_pack_b32_f16 v2, v19, v27
	v_fma_f16 v43, v4, s15, v6
	v_pack_b32_f16 v3, v20, v41
	ds_write2_b32 v37, v1, v2 offset1:10
	ds_write_b32 v37, v3 offset:80
	v_add_u32_sdwa v1, v36, v35 dst_sel:DWORD dst_unused:UNUSED_PAD src0_sel:DWORD src1_sel:BYTE_0
	v_fma_f16 v42, v4, s14, v6
	v_add_lshl_u32 v40, v30, v1, 2
	v_pack_b32_f16 v1, v21, v32
	v_pack_b32_f16 v2, v22, v43
	ds_write2_b32 v40, v1, v2 offset1:10
	v_pack_b32_f16 v1, v23, v42
	ds_write_b32 v40, v1 offset:80
	s_waitcnt lgkmcnt(0)
	s_barrier
	s_and_saveexec_b64 s[4:5], vcc
	s_cbranch_execz .LBB0_9
; %bb.8:
	ds_read2_b32 v[18:19], v33 offset1:90
	ds_read2_b32 v[20:21], v0 offset0:52 offset1:142
	v_add_u32_e32 v0, 0x400, v33
	ds_read2_b32 v[22:23], v0 offset0:104 offset1:194
	v_add_u32_e32 v0, 0x800, v33
	ds_read2_b32 v[14:15], v0 offset0:28 offset1:118
	s_waitcnt lgkmcnt(3)
	v_lshrrev_b32_e32 v26, 16, v18
	v_lshrrev_b32_e32 v27, 16, v19
	s_waitcnt lgkmcnt(2)
	v_lshrrev_b32_e32 v41, 16, v20
	v_lshrrev_b32_e32 v32, 16, v21
	;; [unrolled: 3-line block ×4, first 2 shown]
.LBB0_9:
	s_or_b64 exec, exec, s[4:5]
	s_movk_i32 s4, 0x89
	v_mul_lo_u16_sdwa v0, v29, s4 dst_sel:DWORD dst_unused:UNUSED_PAD src0_sel:BYTE_0 src1_sel:DWORD
	v_lshrrev_b16_e32 v35, 12, v0
	v_mul_lo_u16_e32 v0, 30, v35
	v_sub_u16_e32 v0, v29, v0
	v_and_b32_e32 v36, 0xff, v0
	v_mad_u64_u32 v[44:45], s[4:5], v36, 28, s[2:3]
	s_movk_i32 s14, 0x39a8
	s_mov_b32 s15, 0xb9a8
	global_load_dwordx4 v[0:3], v[44:45], off offset:80
	global_load_dwordx3 v[4:6], v[44:45], off offset:96
	s_waitcnt vmcnt(0)
	s_barrier
	v_mul_f16_sdwa v44, v27, v0 dst_sel:DWORD dst_unused:UNUSED_PAD src0_sel:DWORD src1_sel:WORD_1
	v_mul_f16_sdwa v45, v19, v0 dst_sel:DWORD dst_unused:UNUSED_PAD src0_sel:DWORD src1_sel:WORD_1
	;; [unrolled: 1-line block ×14, first 2 shown]
	v_fma_f16 v19, v19, v0, -v44
	v_fma_f16 v27, v27, v0, v45
	v_fma_f16 v44, v20, v1, -v46
	v_fma_f16 v41, v41, v1, v47
	;; [unrolled: 2-line block ×7, first 2 shown]
	v_sub_f16_e32 v22, v18, v20
	v_sub_f16_e32 v14, v26, v21
	;; [unrolled: 1-line block ×8, first 2 shown]
	v_fma_f16 v20, v18, 2.0, -v22
	v_fma_f16 v15, v26, 2.0, -v14
	;; [unrolled: 1-line block ×8, first 2 shown]
	v_sub_f16_e32 v45, v22, v47
	v_add_f16_e32 v41, v14, v43
	v_sub_f16_e32 v47, v25, v46
	v_add_f16_e32 v46, v24, v42
	v_sub_f16_e32 v32, v20, v18
	v_sub_f16_e32 v26, v15, v26
	v_sub_f16_e32 v44, v23, v19
	v_sub_f16_e32 v27, v21, v27
	v_fma_f16 v19, v47, s14, v45
	v_fma_f16 v42, v46, s14, v41
	v_sub_f16_e32 v18, v32, v27
	v_add_f16_e32 v43, v26, v44
	v_fma_f16 v19, v46, s15, v19
	v_fma_f16 v42, v47, s14, v42
	s_and_saveexec_b64 s[4:5], vcc
	s_cbranch_execz .LBB0_11
; %bb.10:
	v_fma_f16 v22, v22, 2.0, -v45
	v_fma_f16 v25, v25, 2.0, -v47
	;; [unrolled: 1-line block ×3, first 2 shown]
	v_fma_f16 v45, v25, s15, v22
	v_fma_f16 v24, v24, 2.0, -v46
	v_fma_f16 v14, v14, 2.0, -v41
	v_fma_f16 v45, v24, s15, v45
	v_fma_f16 v24, v24, s15, v14
	v_fma_f16 v20, v20, 2.0, -v32
	v_fma_f16 v23, v23, 2.0, -v44
	;; [unrolled: 1-line block ×4, first 2 shown]
	v_fma_f16 v24, v25, s14, v24
	v_sub_f16_e32 v23, v20, v23
	v_sub_f16_e32 v21, v15, v21
	v_mul_u32_u24_e32 v25, 0xf0, v35
	v_fma_f16 v22, v22, 2.0, -v45
	v_fma_f16 v14, v14, 2.0, -v24
	;; [unrolled: 1-line block ×4, first 2 shown]
	v_add_u32_e32 v25, v25, v36
	v_fma_f16 v49, v41, 2.0, -v42
	v_fma_f16 v50, v32, 2.0, -v18
	v_fma_f16 v51, v26, 2.0, -v43
	v_add_lshl_u32 v25, v30, v25, 2
	v_pack_b32_f16 v15, v20, v15
	v_pack_b32_f16 v14, v22, v14
	ds_write2_b32 v25, v15, v14 offset1:30
	v_pack_b32_f16 v14, v50, v51
	v_pack_b32_f16 v15, v48, v49
	ds_write2_b32 v25, v14, v15 offset0:60 offset1:90
	v_pack_b32_f16 v14, v23, v21
	v_pack_b32_f16 v15, v45, v24
	s_mov_b32 s14, 0x5040100
	ds_write2_b32 v25, v14, v15 offset0:120 offset1:150
	v_perm_b32 v14, v43, v18, s14
	v_perm_b32 v15, v42, v19, s14
	ds_write2_b32 v25, v14, v15 offset0:180 offset1:210
.LBB0_11:
	s_or_b64 exec, exec, s[4:5]
	v_lshlrev_b64 v[16:17], 3, v[16:17]
	v_lshlrev_b32_e32 v14, 3, v29
	s_waitcnt lgkmcnt(0)
	s_barrier
	global_load_dwordx2 v[14:15], v14, s[2:3] offset:920
	v_mov_b32_e32 v20, s3
	v_add_co_u32_e64 v16, s[2:3], s2, v16
	v_addc_co_u32_e64 v17, s[2:3], v20, v17, s[2:3]
	global_load_dwordx2 v[16:17], v[16:17], off offset:920
	v_add_u32_e32 v20, 0x200, v33
	ds_read2_b32 v[23:24], v33 offset1:120
	v_add_u32_e32 v22, 0x600, v33
	ds_read2_b32 v[20:21], v20 offset0:112 offset1:232
	ds_read2_b32 v[25:26], v22 offset0:96 offset1:216
	s_movk_i32 s2, 0x3aee
	s_mov_b32 s3, 0xbaee
	s_waitcnt lgkmcnt(2)
	v_lshrrev_b32_e32 v22, 16, v23
	s_waitcnt lgkmcnt(1)
	v_lshrrev_b32_e32 v44, 16, v20
	;; [unrolled: 2-line block ×3, first 2 shown]
	v_lshrrev_b32_e32 v46, 16, v21
	v_lshrrev_b32_e32 v47, 16, v26
	v_lshrrev_b32_e32 v48, 16, v24
	v_lshl_add_u32 v32, v29, 2, v31
	v_add_u32_e32 v41, v28, v31
	v_add_u32_e32 v27, 0x3c0, v32
	;; [unrolled: 1-line block ×3, first 2 shown]
	s_waitcnt vmcnt(1)
	v_mul_f16_sdwa v49, v44, v14 dst_sel:DWORD dst_unused:UNUSED_PAD src0_sel:DWORD src1_sel:WORD_1
	v_mul_f16_sdwa v51, v20, v14 dst_sel:DWORD dst_unused:UNUSED_PAD src0_sel:DWORD src1_sel:WORD_1
	;; [unrolled: 1-line block ×4, first 2 shown]
	v_fma_f16 v20, v20, v14, -v49
	v_fma_f16 v44, v44, v14, v51
	v_fma_f16 v25, v25, v15, -v52
	v_fma_f16 v45, v45, v15, v53
	s_waitcnt vmcnt(0)
	v_mul_f16_sdwa v49, v46, v16 dst_sel:DWORD dst_unused:UNUSED_PAD src0_sel:DWORD src1_sel:WORD_1
	v_mul_f16_sdwa v51, v21, v16 dst_sel:DWORD dst_unused:UNUSED_PAD src0_sel:DWORD src1_sel:WORD_1
	;; [unrolled: 1-line block ×4, first 2 shown]
	v_add_f16_e32 v54, v23, v20
	v_add_f16_e32 v55, v20, v25
	;; [unrolled: 1-line block ×3, first 2 shown]
	v_sub_f16_e32 v56, v44, v45
	v_add_f16_e32 v57, v22, v44
	v_sub_f16_e32 v59, v20, v25
	v_fma_f16 v49, v21, v16, -v49
	v_fma_f16 v51, v46, v16, v51
	v_fma_f16 v26, v26, v17, -v52
	v_fma_f16 v47, v47, v17, v53
	v_add_f16_e32 v20, v54, v25
	v_fma_f16 v23, v55, -0.5, v23
	v_fma_f16 v25, v58, -0.5, v22
	v_add_f16_e32 v44, v57, v45
	v_fma_f16 v21, v56, s2, v23
	v_fma_f16 v22, v56, s3, v23
	v_fma_f16 v45, v59, s3, v25
	v_fma_f16 v46, v59, s2, v25
	v_add_f16_e32 v23, v24, v49
	v_add_f16_e32 v25, v49, v26
	v_sub_f16_e32 v52, v51, v47
	v_add_f16_e32 v53, v48, v51
	v_add_f16_e32 v51, v51, v47
	v_sub_f16_e32 v54, v49, v26
	v_add_f16_e32 v23, v23, v26
	v_fma_f16 v25, v25, -0.5, v24
	v_add_f16_e32 v47, v53, v47
	v_fma_f16 v26, v51, -0.5, v48
	v_pack_b32_f16 v55, v20, v44
	v_pack_b32_f16 v51, v21, v45
	;; [unrolled: 1-line block ×3, first 2 shown]
	v_fma_f16 v24, v52, s2, v25
	v_fma_f16 v25, v52, s3, v25
	;; [unrolled: 1-line block ×4, first 2 shown]
	v_pack_b32_f16 v26, v23, v47
	ds_write2_b32 v27, v51, v53 offset1:240
	ds_write2_b32 v32, v55, v26 offset1:120
	v_pack_b32_f16 v26, v24, v49
	v_pack_b32_f16 v27, v25, v48
	ds_write2_b32 v50, v26, v27 offset0:8 offset1:248
	s_waitcnt lgkmcnt(0)
	s_barrier
	s_and_saveexec_b64 s[2:3], s[0:1]
	s_cbranch_execz .LBB0_13
; %bb.12:
	global_load_dword v51, v28, s[6:7] offset:2880
	ds_read2_b32 v[26:27], v32 offset1:72
	s_add_u32 s4, s6, 0xb40
	s_addc_u32 s5, s7, 0
	s_waitcnt lgkmcnt(0)
	v_lshrrev_b32_e32 v50, 16, v26
	s_waitcnt vmcnt(0)
	v_mul_f16_sdwa v52, v50, v51 dst_sel:DWORD dst_unused:UNUSED_PAD src0_sel:DWORD src1_sel:WORD_1
	v_fma_f16 v52, v26, v51, -v52
	v_mul_f16_sdwa v26, v26, v51 dst_sel:DWORD dst_unused:UNUSED_PAD src0_sel:DWORD src1_sel:WORD_1
	v_fma_f16 v26, v50, v51, v26
	global_load_dword v51, v28, s[4:5] offset:288
	v_lshrrev_b32_e32 v50, 16, v27
	v_pack_b32_f16 v26, v52, v26
	s_waitcnt vmcnt(0)
	v_mul_f16_sdwa v52, v50, v51 dst_sel:DWORD dst_unused:UNUSED_PAD src0_sel:DWORD src1_sel:WORD_1
	v_fma_f16 v52, v27, v51, -v52
	v_mul_f16_sdwa v27, v27, v51 dst_sel:DWORD dst_unused:UNUSED_PAD src0_sel:DWORD src1_sel:WORD_1
	v_fma_f16 v27, v50, v51, v27
	global_load_dword v51, v28, s[4:5] offset:576
	v_pack_b32_f16 v27, v52, v27
	ds_write2_b32 v32, v26, v27 offset1:72
	ds_read2_b32 v[26:27], v32 offset0:144 offset1:216
	s_waitcnt lgkmcnt(0)
	v_lshrrev_b32_e32 v50, 16, v26
	s_waitcnt vmcnt(0)
	v_mul_f16_sdwa v52, v50, v51 dst_sel:DWORD dst_unused:UNUSED_PAD src0_sel:DWORD src1_sel:WORD_1
	v_fma_f16 v52, v26, v51, -v52
	v_mul_f16_sdwa v26, v26, v51 dst_sel:DWORD dst_unused:UNUSED_PAD src0_sel:DWORD src1_sel:WORD_1
	v_fma_f16 v26, v50, v51, v26
	global_load_dword v51, v28, s[4:5] offset:864
	v_lshrrev_b32_e32 v50, 16, v27
	v_pack_b32_f16 v26, v52, v26
	s_waitcnt vmcnt(0)
	v_mul_f16_sdwa v52, v50, v51 dst_sel:DWORD dst_unused:UNUSED_PAD src0_sel:DWORD src1_sel:WORD_1
	v_fma_f16 v52, v27, v51, -v52
	v_mul_f16_sdwa v27, v27, v51 dst_sel:DWORD dst_unused:UNUSED_PAD src0_sel:DWORD src1_sel:WORD_1
	v_fma_f16 v27, v50, v51, v27
	v_pack_b32_f16 v27, v52, v27
	global_load_dword v52, v28, s[4:5] offset:1152
	v_add_u32_e32 v50, 0x400, v32
	ds_write2_b32 v32, v26, v27 offset0:144 offset1:216
	ds_read2_b32 v[26:27], v50 offset0:32 offset1:104
	s_waitcnt lgkmcnt(0)
	v_lshrrev_b32_e32 v51, 16, v26
	s_waitcnt vmcnt(0)
	v_mul_f16_sdwa v53, v51, v52 dst_sel:DWORD dst_unused:UNUSED_PAD src0_sel:DWORD src1_sel:WORD_1
	v_fma_f16 v53, v26, v52, -v53
	v_mul_f16_sdwa v26, v26, v52 dst_sel:DWORD dst_unused:UNUSED_PAD src0_sel:DWORD src1_sel:WORD_1
	v_fma_f16 v26, v51, v52, v26
	global_load_dword v52, v28, s[4:5] offset:1440
	v_lshrrev_b32_e32 v51, 16, v27
	v_pack_b32_f16 v26, v53, v26
	s_waitcnt vmcnt(0)
	v_mul_f16_sdwa v53, v51, v52 dst_sel:DWORD dst_unused:UNUSED_PAD src0_sel:DWORD src1_sel:WORD_1
	v_fma_f16 v53, v27, v52, -v53
	v_mul_f16_sdwa v27, v27, v52 dst_sel:DWORD dst_unused:UNUSED_PAD src0_sel:DWORD src1_sel:WORD_1
	v_fma_f16 v27, v51, v52, v27
	global_load_dword v52, v28, s[4:5] offset:1728
	v_pack_b32_f16 v27, v53, v27
	ds_write2_b32 v50, v26, v27 offset0:32 offset1:104
	ds_read2_b32 v[26:27], v50 offset0:176 offset1:248
	s_waitcnt lgkmcnt(0)
	v_lshrrev_b32_e32 v51, 16, v26
	s_waitcnt vmcnt(0)
	v_mul_f16_sdwa v53, v51, v52 dst_sel:DWORD dst_unused:UNUSED_PAD src0_sel:DWORD src1_sel:WORD_1
	v_fma_f16 v53, v26, v52, -v53
	v_mul_f16_sdwa v26, v26, v52 dst_sel:DWORD dst_unused:UNUSED_PAD src0_sel:DWORD src1_sel:WORD_1
	v_fma_f16 v26, v51, v52, v26
	global_load_dword v52, v28, s[4:5] offset:2016
	v_lshrrev_b32_e32 v51, 16, v27
	v_pack_b32_f16 v26, v53, v26
	s_waitcnt vmcnt(0)
	v_mul_f16_sdwa v53, v51, v52 dst_sel:DWORD dst_unused:UNUSED_PAD src0_sel:DWORD src1_sel:WORD_1
	v_fma_f16 v53, v27, v52, -v53
	v_mul_f16_sdwa v27, v27, v52 dst_sel:DWORD dst_unused:UNUSED_PAD src0_sel:DWORD src1_sel:WORD_1
	v_fma_f16 v27, v51, v52, v27
	global_load_dword v52, v28, s[4:5] offset:2304
	v_pack_b32_f16 v27, v53, v27
	ds_write2_b32 v50, v26, v27 offset0:176 offset1:248
	v_add_u32_e32 v50, 0x800, v32
	ds_read2_b32 v[26:27], v50 offset0:64 offset1:136
	s_waitcnt lgkmcnt(0)
	v_lshrrev_b32_e32 v51, 16, v26
	s_waitcnt vmcnt(0)
	v_mul_f16_sdwa v53, v51, v52 dst_sel:DWORD dst_unused:UNUSED_PAD src0_sel:DWORD src1_sel:WORD_1
	v_fma_f16 v53, v26, v52, -v53
	v_mul_f16_sdwa v26, v26, v52 dst_sel:DWORD dst_unused:UNUSED_PAD src0_sel:DWORD src1_sel:WORD_1
	v_fma_f16 v26, v51, v52, v26
	global_load_dword v52, v28, s[4:5] offset:2592
	v_lshrrev_b32_e32 v51, 16, v27
	v_pack_b32_f16 v26, v53, v26
	s_waitcnt vmcnt(0)
	v_mul_f16_sdwa v53, v51, v52 dst_sel:DWORD dst_unused:UNUSED_PAD src0_sel:DWORD src1_sel:WORD_1
	v_fma_f16 v53, v27, v52, -v53
	v_mul_f16_sdwa v27, v27, v52 dst_sel:DWORD dst_unused:UNUSED_PAD src0_sel:DWORD src1_sel:WORD_1
	v_fma_f16 v27, v51, v52, v27
	v_pack_b32_f16 v27, v53, v27
	ds_write2_b32 v50, v26, v27 offset0:64 offset1:136
.LBB0_13:
	s_or_b64 exec, exec, s[2:3]
	s_waitcnt lgkmcnt(0)
	s_barrier
	s_and_saveexec_b64 s[2:3], s[0:1]
	s_cbranch_execz .LBB0_15
; %bb.14:
	v_add_u32_e32 v8, 0x400, v32
	ds_read2_b32 v[20:21], v32 offset1:72
	ds_read2_b32 v[22:23], v32 offset0:144 offset1:216
	ds_read2_b32 v[24:25], v8 offset0:32 offset1:104
	;; [unrolled: 1-line block ×3, first 2 shown]
	v_add_u32_e32 v8, 0x800, v32
	ds_read2_b32 v[8:9], v8 offset0:64 offset1:136
	s_waitcnt lgkmcnt(4)
	v_lshrrev_b32_e32 v44, 16, v20
	v_lshrrev_b32_e32 v45, 16, v21
	s_waitcnt lgkmcnt(3)
	v_lshrrev_b32_e32 v46, 16, v22
	v_lshrrev_b32_e32 v47, 16, v23
	;; [unrolled: 3-line block ×5, first 2 shown]
.LBB0_15:
	s_or_b64 exec, exec, s[2:3]
	v_add_f16_e32 v26, v18, v24
	v_fma_f16 v54, v26, -0.5, v20
	v_sub_f16_e32 v61, v46, v38
	s_mov_b32 s2, 0xbb9c
	v_fma_f16 v26, v61, s2, v54
	v_sub_f16_e32 v65, v49, v43
	s_mov_b32 s3, 0xb8b4
	v_sub_f16_e32 v27, v22, v24
	v_sub_f16_e32 v50, v8, v18
	v_fma_f16 v26, v65, s3, v26
	v_add_f16_e32 v66, v50, v27
	s_movk_i32 s14, 0x34f2
	v_fma_f16 v52, v66, s14, v26
	v_add_f16_e32 v26, v8, v22
	s_movk_i32 s4, 0x3b9c
	v_fma_f16 v56, v26, -0.5, v20
	v_fma_f16 v26, v65, s4, v56
	v_sub_f16_e32 v27, v24, v22
	v_sub_f16_e32 v50, v18, v8
	v_fma_f16 v26, v61, s3, v26
	v_add_f16_e32 v70, v50, v27
	v_fma_f16 v53, v70, s14, v26
	v_add_f16_e32 v26, v43, v49
	v_fma_f16 v62, v26, -0.5, v44
	v_sub_f16_e32 v69, v22, v8
	s_movk_i32 s5, 0x38b4
	v_fma_f16 v26, v69, s4, v62
	v_sub_f16_e32 v71, v24, v18
	v_sub_f16_e32 v27, v46, v49
	;; [unrolled: 1-line block ×3, first 2 shown]
	v_fma_f16 v26, v71, s5, v26
	v_add_f16_e32 v72, v50, v27
	v_fma_f16 v55, v72, s14, v26
	v_add_f16_e32 v26, v38, v46
	v_sub_f16_e32 v27, v49, v46
	v_sub_f16_e32 v50, v43, v38
	v_fma_f16 v60, v26, -0.5, v44
	v_add_f16_e32 v75, v50, v27
	v_sub_f16_e32 v27, v23, v25
	v_sub_f16_e32 v50, v9, v19
	v_fma_f16 v26, v71, s2, v60
	v_add_f16_e32 v78, v50, v27
	v_sub_f16_e32 v50, v25, v23
	v_sub_f16_e32 v51, v19, v9
	v_fma_f16 v26, v69, s5, v26
	v_add_f16_e32 v80, v51, v50
	v_add_f16_e32 v50, v42, v48
	v_sub_f16_e32 v51, v47, v48
	v_sub_f16_e32 v58, v39, v42
	v_fma_f16 v57, v75, s14, v26
	v_add_f16_e32 v26, v19, v25
	v_fma_f16 v76, v50, -0.5, v45
	v_sub_f16_e32 v79, v23, v9
	v_add_f16_e32 v82, v58, v51
	v_add_f16_e32 v51, v39, v47
	v_fma_f16 v68, v26, -0.5, v21
	v_sub_f16_e32 v74, v47, v39
	v_add_f16_e32 v27, v9, v23
	v_fma_f16 v50, v79, s4, v76
	v_sub_f16_e32 v81, v25, v19
	v_fma_f16 v73, v51, -0.5, v45
	v_fma_f16 v26, v74, s2, v68
	v_sub_f16_e32 v77, v48, v42
	v_fma_f16 v67, v27, -0.5, v21
	v_fma_f16 v50, v81, s5, v50
	v_fma_f16 v51, v81, s2, v73
	v_sub_f16_e32 v58, v48, v47
	v_sub_f16_e32 v59, v42, v39
	v_fma_f16 v26, v77, s3, v26
	v_fma_f16 v27, v77, s4, v67
	v_fma_f16 v50, v82, s14, v50
	v_fma_f16 v51, v79, s5, v51
	v_add_f16_e32 v83, v59, v58
	v_fma_f16 v26, v78, s14, v26
	v_fma_f16 v27, v74, s3, v27
	v_fma_f16 v51, v83, s14, v51
	v_mul_f16_e32 v58, 0xb8b4, v50
	s_movk_i32 s2, 0x3a79
	v_mul_f16_e32 v50, 0x3a79, v50
	v_fma_f16 v27, v80, s14, v27
	v_fma_f16 v58, v26, s2, v58
	v_mul_f16_e32 v59, 0xbb9c, v51
	v_fma_f16 v63, v26, s5, v50
	v_mul_f16_e32 v26, 0x34f2, v51
	v_fma_f16 v59, v27, s14, v59
	v_fma_f16 v64, v27, s4, v26
	v_sub_f16_e32 v26, v52, v58
	v_sub_f16_e32 v27, v53, v59
	;; [unrolled: 1-line block ×4, first 2 shown]
	s_barrier
	s_and_saveexec_b64 s[2:3], s[0:1]
	s_cbranch_execz .LBB0_17
; %bb.16:
	v_mul_f16_e32 v86, 0x3b9c, v69
	v_mul_f16_e32 v87, 0x38b4, v71
	v_sub_f16_e32 v62, v62, v86
	v_mul_f16_e32 v72, 0x34f2, v72
	v_mul_f16_e32 v71, 0x3b9c, v71
	;; [unrolled: 1-line block ×3, first 2 shown]
	v_sub_f16_e32 v62, v62, v87
	v_add_f16_e32 v44, v46, v44
	v_add_f16_e32 v20, v22, v20
	v_mul_f16_e32 v69, 0x38b4, v69
	v_mul_f16_e32 v88, 0x3b9c, v74
	;; [unrolled: 1-line block ×4, first 2 shown]
	v_add_f16_e32 v62, v72, v62
	v_sub_f16_e32 v72, v76, v90
	v_add_f16_e32 v60, v71, v60
	v_add_f16_e32 v44, v49, v44
	;; [unrolled: 1-line block ×3, first 2 shown]
	v_mul_f16_e32 v89, 0x38b4, v77
	v_mul_f16_e32 v77, 0x3b9c, v77
	;; [unrolled: 1-line block ×4, first 2 shown]
	v_add_f16_e32 v68, v88, v68
	v_sub_f16_e32 v72, v72, v91
	v_sub_f16_e32 v60, v60, v69
	v_add_f16_e32 v69, v81, v73
	v_add_f16_e32 v43, v43, v44
	;; [unrolled: 1-line block ×3, first 2 shown]
	v_mul_f16_e32 v85, 0x38b4, v65
	v_mul_f16_e32 v65, 0x3b9c, v65
	;; [unrolled: 1-line block ×5, first 2 shown]
	v_add_f16_e32 v68, v89, v68
	v_add_f16_e32 v72, v82, v72
	v_sub_f16_e32 v67, v67, v77
	v_sub_f16_e32 v69, v69, v79
	v_add_f16_e32 v38, v38, v43
	v_add_f16_e32 v43, v47, v45
	;; [unrolled: 1-line block ×4, first 2 shown]
	v_mul_f16_e32 v84, 0x3b9c, v61
	v_mul_f16_e32 v61, 0x38b4, v61
	;; [unrolled: 1-line block ×3, first 2 shown]
	v_add_f16_e32 v68, v78, v68
	v_mul_f16_e32 v76, 0xba79, v72
	v_add_f16_e32 v67, v74, v67
	v_add_f16_e32 v69, v83, v69
	;; [unrolled: 1-line block ×3, first 2 shown]
	v_sub_f16_e32 v46, v56, v65
	v_add_f16_e32 v18, v25, v18
	v_mul_f16_e32 v70, 0x34f2, v70
	v_mul_f16_e32 v75, 0x34f2, v75
	v_fma_f16 v76, v68, s5, v76
	v_add_f16_e32 v67, v80, v67
	s_mov_b32 s5, 0xb4f2
	v_mul_f16_e32 v71, 0xb4f2, v69
	v_add_f16_e32 v42, v42, v43
	v_add_f16_e32 v43, v84, v54
	;; [unrolled: 1-line block ×3, first 2 shown]
	v_mul_f16_e32 v47, 0x3b9c, v69
	v_add_f16_e32 v18, v19, v18
	v_mul_f16_e32 v66, 0x34f2, v66
	s_mov_b32 s14, 0xba79
	v_add_f16_e32 v60, v75, v60
	v_fma_f16 v71, v67, s4, v71
	v_add_f16_e32 v39, v39, v42
	v_add_f16_e32 v43, v85, v43
	v_mul_f16_e32 v44, 0x38b4, v72
	v_add_f16_e32 v46, v70, v46
	v_fma_f16 v47, v67, s5, -v47
	v_add_f16_e32 v9, v9, v18
	v_sub_f16_e32 v42, v38, v39
	v_add_f16_e32 v43, v66, v43
	v_fma_f16 v44, v68, s14, -v44
	v_sub_f16_e32 v20, v8, v9
	v_add_f16_e32 v18, v60, v71
	v_add_f16_e32 v22, v57, v64
	;; [unrolled: 1-line block ×10, first 2 shown]
	v_lshl_add_u32 v34, v34, 2, v31
	v_pack_b32_f16 v8, v8, v19
	v_pack_b32_f16 v19, v25, v18
	;; [unrolled: 1-line block ×4, first 2 shown]
	s_mov_b32 s4, 0x5040100
	v_sub_f16_e32 v78, v62, v76
	v_sub_f16_e32 v73, v60, v71
	;; [unrolled: 1-line block ×4, first 2 shown]
	ds_write2_b64 v34, v[8:9], v[18:19] offset1:1
	v_pack_b32_f16 v9, v20, v42
	v_pack_b32_f16 v8, v24, v21
	v_perm_b32 v19, v51, v27, s4
	v_perm_b32 v18, v50, v26, s4
	ds_write2_b64 v34, v[8:9], v[18:19] offset0:2 offset1:3
	v_pack_b32_f16 v9, v45, v78
	v_pack_b32_f16 v8, v48, v73
	ds_write_b64 v34, v[8:9] offset:32
.LBB0_17:
	s_or_b64 exec, exec, s[2:3]
	v_add_u32_e32 v18, 0x200, v33
	s_waitcnt lgkmcnt(0)
	s_barrier
	ds_read2_b32 v[8:9], v18 offset0:112 offset1:232
	v_add_u32_e32 v19, 0x600, v33
	ds_read2_b32 v[19:20], v19 offset0:96 offset1:216
	ds_read2_b32 v[21:22], v33 offset1:120
	s_mov_b32 s2, 0xbaee
	s_waitcnt lgkmcnt(2)
	v_lshrrev_b32_e32 v24, 16, v8
	v_mul_f16_sdwa v42, v12, v24 dst_sel:DWORD dst_unused:UNUSED_PAD src0_sel:WORD_1 src1_sel:DWORD
	s_waitcnt lgkmcnt(1)
	v_lshrrev_b32_e32 v25, 16, v19
	v_fma_f16 v42, v12, v8, v42
	v_mul_f16_sdwa v8, v12, v8 dst_sel:DWORD dst_unused:UNUSED_PAD src0_sel:WORD_1 src1_sel:DWORD
	v_fma_f16 v12, v12, v24, -v8
	v_mul_f16_sdwa v8, v13, v25 dst_sel:DWORD dst_unused:UNUSED_PAD src0_sel:WORD_1 src1_sel:DWORD
	v_lshrrev_b32_e32 v38, 16, v9
	v_fma_f16 v24, v13, v19, v8
	v_mul_f16_sdwa v8, v13, v19 dst_sel:DWORD dst_unused:UNUSED_PAD src0_sel:WORD_1 src1_sel:DWORD
	v_fma_f16 v13, v13, v25, -v8
	v_mul_f16_sdwa v8, v10, v38 dst_sel:DWORD dst_unused:UNUSED_PAD src0_sel:WORD_1 src1_sel:DWORD
	;; [unrolled: 5-line block ×3, first 2 shown]
	v_fma_f16 v43, v11, v20, v8
	v_mul_f16_sdwa v8, v11, v20 dst_sel:DWORD dst_unused:UNUSED_PAD src0_sel:WORD_1 src1_sel:DWORD
	v_add_f16_e32 v9, v42, v24
	s_waitcnt lgkmcnt(0)
	v_lshrrev_b32_e32 v23, 16, v21
	v_fma_f16 v39, v11, v39, -v8
	v_fma_f16 v10, v9, -0.5, v21
	v_sub_f16_e32 v11, v12, v13
	s_movk_i32 s3, 0x3aee
	v_fma_f16 v9, v11, s2, v10
	v_fma_f16 v10, v11, s3, v10
	v_add_f16_e32 v11, v23, v12
	v_add_f16_e32 v19, v11, v13
	;; [unrolled: 1-line block ×3, first 2 shown]
	v_fma_f16 v11, v11, -0.5, v23
	v_sub_f16_e32 v12, v42, v24
	v_add_f16_e32 v8, v21, v42
	v_fma_f16 v21, v12, s3, v11
	v_fma_f16 v20, v12, s2, v11
	v_add_f16_e32 v12, v25, v43
	v_lshrrev_b32_e32 v34, 16, v22
	v_add_f16_e32 v11, v22, v25
	v_fma_f16 v13, v12, -0.5, v22
	v_sub_f16_e32 v22, v38, v39
	v_fma_f16 v12, v22, s2, v13
	v_fma_f16 v13, v22, s3, v13
	v_add_f16_e32 v22, v34, v38
	v_add_f16_e32 v23, v22, v39
	;; [unrolled: 1-line block ×4, first 2 shown]
	v_fma_f16 v24, v22, -0.5, v34
	v_sub_f16_e32 v25, v25, v43
	v_fma_f16 v22, v25, s3, v24
	v_fma_f16 v24, v25, s2, v24
	v_pack_b32_f16 v25, v8, v19
	v_pack_b32_f16 v34, v9, v21
	v_add_f16_e32 v11, v11, v43
	s_barrier
	ds_write2_b32 v37, v25, v34 offset1:10
	v_pack_b32_f16 v25, v10, v20
	ds_write_b32 v37, v25 offset:80
	v_pack_b32_f16 v25, v11, v23
	v_pack_b32_f16 v34, v12, v22
	ds_write2_b32 v40, v25, v34 offset1:10
	v_pack_b32_f16 v25, v13, v24
	ds_write_b32 v40, v25 offset:80
	s_waitcnt lgkmcnt(0)
	s_barrier
	s_and_saveexec_b64 s[2:3], vcc
	s_cbranch_execz .LBB0_19
; %bb.18:
	ds_read2_b32 v[8:9], v33 offset1:90
	ds_read2_b32 v[10:11], v18 offset0:52 offset1:142
	v_add_u32_e32 v12, 0x400, v33
	v_add_u32_e32 v18, 0x800, v33
	ds_read2_b32 v[12:13], v12 offset0:104 offset1:194
	ds_read2_b32 v[26:27], v18 offset0:28 offset1:118
	s_waitcnt lgkmcnt(3)
	v_lshrrev_b32_e32 v19, 16, v8
	v_lshrrev_b32_e32 v21, 16, v9
	s_waitcnt lgkmcnt(2)
	v_lshrrev_b32_e32 v20, 16, v10
	v_lshrrev_b32_e32 v23, 16, v11
	;; [unrolled: 3-line block ×4, first 2 shown]
.LBB0_19:
	s_or_b64 exec, exec, s[2:3]
	v_add_u32_e32 v18, 0x1e0, v41
	s_barrier
	s_and_saveexec_b64 s[2:3], vcc
	s_cbranch_execz .LBB0_21
; %bb.20:
	v_mul_f16_sdwa v37, v3, v22 dst_sel:DWORD dst_unused:UNUSED_PAD src0_sel:WORD_1 src1_sel:DWORD
	v_fma_f16 v37, v3, v12, v37
	v_mul_f16_sdwa v41, v2, v23 dst_sel:DWORD dst_unused:UNUSED_PAD src0_sel:WORD_1 src1_sel:DWORD
	v_mul_f16_sdwa v12, v3, v12 dst_sel:DWORD dst_unused:UNUSED_PAD src0_sel:WORD_1 src1_sel:DWORD
	;; [unrolled: 1-line block ×3, first 2 shown]
	v_fma_f16 v41, v2, v11, v41
	v_mul_f16_sdwa v11, v2, v11 dst_sel:DWORD dst_unused:UNUSED_PAD src0_sel:WORD_1 src1_sel:DWORD
	v_fma_f16 v3, v3, v22, -v12
	v_mul_f16_sdwa v12, v1, v20 dst_sel:DWORD dst_unused:UNUSED_PAD src0_sel:WORD_1 src1_sel:DWORD
	v_fma_f16 v25, v1, v20, -v25
	v_mul_f16_sdwa v34, v5, v26 dst_sel:DWORD dst_unused:UNUSED_PAD src0_sel:WORD_1 src1_sel:DWORD
	v_mul_f16_sdwa v39, v0, v9 dst_sel:DWORD dst_unused:UNUSED_PAD src0_sel:WORD_1 src1_sel:DWORD
	;; [unrolled: 1-line block ×4, first 2 shown]
	v_fma_f16 v2, v2, v23, -v11
	v_mul_f16_sdwa v11, v6, v27 dst_sel:DWORD dst_unused:UNUSED_PAD src0_sel:WORD_1 src1_sel:DWORD
	v_fma_f16 v1, v1, v10, v12
	v_mul_f16_sdwa v10, v5, v50 dst_sel:DWORD dst_unused:UNUSED_PAD src0_sel:WORD_1 src1_sel:DWORD
	v_fma_f16 v34, v5, v50, -v34
	v_fma_f16 v39, v0, v21, -v39
	;; [unrolled: 1-line block ×3, first 2 shown]
	v_fma_f16 v42, v6, v27, v42
	v_fma_f16 v6, v6, v51, -v11
	v_mul_f16_sdwa v11, v0, v21 dst_sel:DWORD dst_unused:UNUSED_PAD src0_sel:WORD_1 src1_sel:DWORD
	v_fma_f16 v5, v5, v26, v10
	v_sub_f16_e32 v37, v8, v37
	v_sub_f16_e32 v40, v39, v40
	;; [unrolled: 1-line block ×3, first 2 shown]
	v_fma_f16 v0, v0, v9, v11
	v_mul_f16_sdwa v9, v4, v24 dst_sel:DWORD dst_unused:UNUSED_PAD src0_sel:WORD_1 src1_sel:DWORD
	v_sub_f16_e32 v3, v19, v3
	v_sub_f16_e32 v5, v1, v5
	;; [unrolled: 1-line block ×4, first 2 shown]
	v_fma_f16 v4, v4, v13, v9
	v_sub_f16_e32 v10, v3, v5
	v_fma_f16 v8, v8, 2.0, -v37
	v_fma_f16 v1, v1, 2.0, -v5
	;; [unrolled: 1-line block ×4, first 2 shown]
	v_sub_f16_e32 v43, v40, v42
	v_sub_f16_e32 v4, v0, v4
	s_movk_i32 s4, 0x39a8
	v_sub_f16_e32 v1, v8, v1
	v_sub_f16_e32 v2, v5, v2
	v_fma_f16 v19, v19, 2.0, -v3
	v_fma_f16 v22, v25, 2.0, -v34
	v_add_f16_e32 v38, v34, v37
	v_add_f16_e32 v9, v6, v4
	v_fma_f16 v12, v43, s4, v10
	s_mov_b32 s5, 0xb9a8
	v_add_f16_e32 v6, v1, v2
	v_sub_f16_e32 v22, v19, v22
	v_fma_f16 v0, v0, 2.0, -v4
	v_fma_f16 v23, v41, 2.0, -v42
	v_fma_f16 v12, v9, s5, v12
	v_fma_f16 v21, v1, 2.0, -v6
	v_sub_f16_e32 v23, v0, v23
	v_fma_f16 v26, v37, 2.0, -v38
	v_fma_f16 v27, v40, 2.0, -v43
	;; [unrolled: 1-line block ×7, first 2 shown]
	v_fma_f16 v11, v9, s4, v38
	v_fma_f16 v20, v10, 2.0, -v12
	v_fma_f16 v9, v4, s5, v26
	v_fma_f16 v10, v27, s5, v3
	v_fma_f16 v0, v0, 2.0, -v23
	v_sub_f16_e32 v2, v8, v2
	v_fma_f16 v9, v27, s4, v9
	v_fma_f16 v4, v4, s5, v10
	v_sub_f16_e32 v0, v1, v0
	v_fma_f16 v5, v8, 2.0, -v2
	v_mul_u32_u24_e32 v8, 0xf0, v35
	v_fma_f16 v11, v43, s4, v11
	v_sub_f16_e32 v24, v22, v23
	v_fma_f16 v26, v26, 2.0, -v9
	v_fma_f16 v3, v3, 2.0, -v4
	v_fma_f16 v1, v1, 2.0, -v0
	v_add_u32_e32 v8, v8, v36
	v_fma_f16 v13, v38, 2.0, -v11
	v_fma_f16 v25, v22, 2.0, -v24
	v_lshl_add_u32 v8, v8, 2, v31
	v_pack_b32_f16 v1, v1, v5
	v_pack_b32_f16 v3, v26, v3
	ds_write2_b32 v8, v1, v3 offset1:30
	v_pack_b32_f16 v1, v21, v25
	v_pack_b32_f16 v3, v13, v20
	ds_write2_b32 v8, v1, v3 offset0:60 offset1:90
	v_pack_b32_f16 v0, v0, v2
	v_pack_b32_f16 v1, v9, v4
	ds_write2_b32 v8, v0, v1 offset0:120 offset1:150
	;; [unrolled: 3-line block ×3, first 2 shown]
.LBB0_21:
	s_or_b64 exec, exec, s[2:3]
	v_add_u32_e32 v2, 0x200, v33
	s_waitcnt lgkmcnt(0)
	s_barrier
	ds_read2_b32 v[2:3], v2 offset0:112 offset1:232
	v_add_u32_e32 v4, 0x600, v33
	ds_read2_b32 v[4:5], v4 offset0:96 offset1:216
	ds_read2_b32 v[0:1], v33 offset1:120
	s_mov_b32 s2, 0xbaee
	s_waitcnt lgkmcnt(2)
	v_lshrrev_b32_e32 v8, 16, v2
	v_mul_f16_sdwa v13, v14, v8 dst_sel:DWORD dst_unused:UNUSED_PAD src0_sel:WORD_1 src1_sel:DWORD
	s_waitcnt lgkmcnt(1)
	v_lshrrev_b32_e32 v9, 16, v4
	v_fma_f16 v13, v14, v2, v13
	v_mul_f16_sdwa v2, v14, v2 dst_sel:DWORD dst_unused:UNUSED_PAD src0_sel:WORD_1 src1_sel:DWORD
	v_fma_f16 v2, v14, v8, -v2
	v_mul_f16_sdwa v8, v15, v9 dst_sel:DWORD dst_unused:UNUSED_PAD src0_sel:WORD_1 src1_sel:DWORD
	v_lshrrev_b32_e32 v11, 16, v3
	v_fma_f16 v8, v15, v4, v8
	v_mul_f16_sdwa v4, v15, v4 dst_sel:DWORD dst_unused:UNUSED_PAD src0_sel:WORD_1 src1_sel:DWORD
	v_fma_f16 v4, v15, v9, -v4
	v_mul_f16_sdwa v9, v16, v11 dst_sel:DWORD dst_unused:UNUSED_PAD src0_sel:WORD_1 src1_sel:DWORD
	;; [unrolled: 5-line block ×3, first 2 shown]
	v_fma_f16 v11, v17, v5, v11
	v_mul_f16_sdwa v5, v17, v5 dst_sel:DWORD dst_unused:UNUSED_PAD src0_sel:WORD_1 src1_sel:DWORD
	v_add_f16_e32 v14, v13, v8
	s_waitcnt lgkmcnt(0)
	v_lshrrev_b32_e32 v6, 16, v0
	v_fma_f16 v5, v17, v12, -v5
	v_add_f16_e32 v12, v0, v13
	v_fma_f16 v0, v14, -0.5, v0
	v_sub_f16_e32 v14, v2, v4
	s_movk_i32 s3, 0x3aee
	v_fma_f16 v15, v14, s2, v0
	v_fma_f16 v0, v14, s3, v0
	v_add_f16_e32 v14, v6, v2
	v_add_f16_e32 v2, v2, v4
	;; [unrolled: 1-line block ×4, first 2 shown]
	v_fma_f16 v2, v2, -0.5, v6
	v_sub_f16_e32 v4, v13, v8
	v_add_f16_e32 v8, v9, v11
	v_lshrrev_b32_e32 v10, 16, v1
	v_fma_f16 v6, v4, s3, v2
	v_fma_f16 v2, v4, s2, v2
	v_add_f16_e32 v4, v1, v9
	v_fma_f16 v1, v8, -0.5, v1
	v_sub_f16_e32 v8, v3, v5
	v_fma_f16 v13, v8, s2, v1
	v_fma_f16 v1, v8, s3, v1
	v_add_f16_e32 v8, v10, v3
	v_add_f16_e32 v3, v3, v5
	;; [unrolled: 1-line block ×4, first 2 shown]
	v_fma_f16 v3, v3, -0.5, v10
	v_sub_f16_e32 v5, v9, v11
	v_pack_b32_f16 v6, v15, v6
	v_pack_b32_f16 v0, v0, v2
	v_add_u32_e32 v2, 0x3c0, v32
	v_fma_f16 v9, v5, s3, v3
	v_fma_f16 v3, v5, s2, v3
	v_pack_b32_f16 v5, v12, v14
	ds_write2_b32 v2, v6, v0 offset1:240
	v_pack_b32_f16 v0, v4, v8
	ds_write2_b32 v32, v5, v0 offset1:120
	v_pack_b32_f16 v0, v13, v9
	v_pack_b32_f16 v1, v1, v3
	v_add_u32_e32 v2, 0x3c0, v18
	ds_write2_b32 v2, v0, v1 offset1:240
	s_waitcnt lgkmcnt(0)
	s_barrier
	s_and_b64 exec, exec, s[0:1]
	s_cbranch_execz .LBB0_23
; %bb.22:
	global_load_dword v8, v28, s[6:7]
	global_load_dword v6, v28, s[6:7] offset:288
	v_lshl_add_u32 v5, v30, 2, v28
	global_load_dword v9, v28, s[6:7] offset:576
	global_load_dword v10, v28, s[6:7] offset:864
	;; [unrolled: 1-line block ×6, first 2 shown]
	ds_read_b32 v18, v32
	ds_read2_b32 v[16:17], v5 offset0:72 offset1:144
	ds_read_b32 v12, v5 offset:2592
	v_mad_u64_u32 v[0:1], s[0:1], s10, v7, 0
	s_waitcnt lgkmcnt(2)
	v_lshrrev_b32_e32 v19, 16, v18
	v_mad_u64_u32 v[2:3], s[0:1], s8, v29, 0
	s_mov_b32 s14, 0x16c16c17
	s_mov_b32 s15, 0x3f56c16c
	v_mov_b32_e32 v4, 0x7c00
	v_mad_u64_u32 v[22:23], s[0:1], s9, v29, v[3:4]
	s_waitcnt lgkmcnt(1)
	v_lshrrev_b32_e32 v23, 16, v16
	s_movk_i32 s18, 0x1ff
	s_movk_i32 s17, 0xffe
	;; [unrolled: 1-line block ×3, first 2 shown]
	s_mov_b32 s10, 0x8000
	s_waitcnt vmcnt(7)
	v_mul_f16_sdwa v20, v19, v8 dst_sel:DWORD dst_unused:UNUSED_PAD src0_sel:DWORD src1_sel:WORD_1
	v_fma_f16 v20, v18, v8, v20
	v_mul_f16_sdwa v18, v18, v8 dst_sel:DWORD dst_unused:UNUSED_PAD src0_sel:DWORD src1_sel:WORD_1
	v_cvt_f32_f16_e32 v20, v20
	v_fma_f16 v8, v8, v19, -v18
	v_cvt_f32_f16_e32 v21, v8
	v_mad_u64_u32 v[7:8], s[0:1], s11, v7, v[1:2]
	v_cvt_f64_f32_e32 v[18:19], v20
	v_cvt_f64_f32_e32 v[20:21], v21
	v_mov_b32_e32 v1, v7
	s_waitcnt vmcnt(6)
	v_mul_f16_sdwa v3, v23, v6 dst_sel:DWORD dst_unused:UNUSED_PAD src0_sel:DWORD src1_sel:WORD_1
	v_mul_f64 v[18:19], v[18:19], s[14:15]
	v_mul_f64 v[7:8], v[20:21], s[14:15]
	v_fma_f16 v3, v16, v6, v3
	v_cvt_f32_f16_e32 v20, v3
	v_lshlrev_b64 v[0:1], 2, v[0:1]
	v_mul_f16_sdwa v16, v16, v6 dst_sel:DWORD dst_unused:UNUSED_PAD src0_sel:DWORD src1_sel:WORD_1
	v_fma_f16 v6, v6, v23, -v16
	v_cvt_f32_f16_e32 v6, v6
	v_and_or_b32 v3, v19, s18, v18
	v_and_or_b32 v7, v8, s18, v7
	v_cmp_ne_u32_e32 vcc, 0, v3
	v_lshrrev_b32_e32 v18, 8, v19
	v_bfe_u32 v21, v19, 20, 11
	v_cndmask_b32_e64 v3, 0, 1, vcc
	v_cmp_ne_u32_e32 vcc, 0, v7
	v_lshrrev_b32_e32 v24, 8, v8
	v_bfe_u32 v25, v8, 20, 11
	v_sub_u32_e32 v26, 0x3f1, v21
	v_cndmask_b32_e64 v7, 0, 1, vcc
	v_and_or_b32 v3, v18, s17, v3
	v_sub_u32_e32 v27, 0x3f1, v25
	v_med3_i32 v18, v26, 0, 13
	v_and_or_b32 v7, v24, s17, v7
	v_or_b32_e32 v26, 0x1000, v3
	v_add_u32_e32 v21, 0xfffffc10, v21
	v_med3_i32 v24, v27, 0, 13
	v_cmp_ne_u32_e32 vcc, 0, v3
	v_or_b32_e32 v29, 0x1000, v7
	v_lshrrev_b32_e32 v31, v18, v26
	v_add_u32_e32 v25, 0xfffffc10, v25
	v_lshl_or_b32 v27, v21, 12, v3
	v_cndmask_b32_e64 v3, 0, 1, vcc
	v_cmp_ne_u32_e32 vcc, 0, v7
	v_lshrrev_b32_e32 v32, v24, v29
	v_lshlrev_b32_e32 v18, v18, v31
	v_lshl_or_b32 v30, v25, 12, v7
	v_cndmask_b32_e64 v7, 0, 1, vcc
	v_lshlrev_b32_e32 v24, v24, v32
	v_cmp_ne_u32_e32 vcc, v18, v26
	v_cndmask_b32_e64 v18, 0, 1, vcc
	v_cmp_ne_u32_e32 vcc, v24, v29
	v_cndmask_b32_e64 v24, 0, 1, vcc
	v_or_b32_e32 v18, v31, v18
	v_cmp_gt_i32_e32 vcc, 1, v21
	v_cndmask_b32_e32 v18, v27, v18, vcc
	v_or_b32_e32 v24, v32, v24
	v_cmp_gt_i32_e32 vcc, 1, v25
	v_and_b32_e32 v26, 7, v18
	v_cndmask_b32_e32 v24, v30, v24, vcc
	v_cmp_lt_i32_e32 vcc, 5, v26
	v_cmp_eq_u32_e64 s[0:1], 3, v26
	v_lshrrev_b32_e32 v18, 2, v18
	v_and_b32_e32 v27, 7, v24
	s_or_b64 vcc, s[0:1], vcc
	v_cmp_lt_i32_e64 s[2:3], 5, v27
	v_cmp_eq_u32_e64 s[4:5], 3, v27
	v_addc_co_u32_e32 v18, vcc, 0, v18, vcc
	v_lshrrev_b32_e32 v24, 2, v24
	s_or_b64 vcc, s[4:5], s[2:3]
	v_addc_co_u32_e32 v24, vcc, 0, v24, vcc
	v_cmp_gt_i32_e32 vcc, 31, v21
	v_cndmask_b32_e32 v18, v4, v18, vcc
	v_cmp_gt_i32_e32 vcc, 31, v25
	v_lshl_or_b32 v3, v3, 9, v4
	v_cndmask_b32_e32 v24, v4, v24, vcc
	v_cmp_eq_u32_e32 vcc, s16, v21
	v_lshl_or_b32 v7, v7, 9, v4
	v_cndmask_b32_e32 v3, v18, v3, vcc
	v_cmp_eq_u32_e32 vcc, s16, v25
	v_lshrrev_b32_e32 v19, 16, v19
	v_lshrrev_b32_e32 v8, 16, v8
	v_cndmask_b32_e32 v7, v24, v7, vcc
	v_and_or_b32 v18, v19, s10, v3
	v_and_or_b32 v19, v8, s10, v7
	v_cvt_f64_f32_e32 v[7:8], v20
	v_and_b32_e32 v18, 0xffff, v18
	v_mov_b32_e32 v3, v22
	v_lshl_or_b32 v18, v19, 16, v18
	v_mul_f64 v[7:8], v[7:8], s[14:15]
	v_mov_b32_e32 v19, s13
	v_add_co_u32_e32 v20, vcc, s12, v0
	v_addc_co_u32_e32 v19, vcc, v19, v1, vcc
	v_lshlrev_b64 v[0:1], 2, v[2:3]
	s_mul_hi_u32 s2, s8, 0x120
	v_add_co_u32_e32 v0, vcc, v20, v0
	v_addc_co_u32_e32 v1, vcc, v19, v1, vcc
	v_and_or_b32 v2, v8, s18, v7
	v_cmp_ne_u32_e32 vcc, 0, v2
	v_cndmask_b32_e64 v2, 0, 1, vcc
	v_lshrrev_b32_e32 v3, 8, v8
	v_and_or_b32 v7, v3, s17, v2
	v_bfe_u32 v3, v8, 20, 11
	global_store_dword v[0:1], v18, off
	v_sub_u32_e32 v18, 0x3f1, v3
	v_or_b32_e32 v2, 0x1000, v7
	v_med3_i32 v18, v18, 0, 13
	v_lshrrev_b32_e32 v19, v18, v2
	v_lshlrev_b32_e32 v18, v18, v19
	v_cmp_ne_u32_e32 vcc, v18, v2
	v_cndmask_b32_e64 v2, 0, 1, vcc
	v_add_u32_e32 v18, 0xfffffc10, v3
	v_or_b32_e32 v2, v19, v2
	v_lshl_or_b32 v3, v18, 12, v7
	v_cmp_gt_i32_e32 vcc, 1, v18
	v_cndmask_b32_e32 v2, v3, v2, vcc
	v_and_b32_e32 v3, 7, v2
	v_cmp_lt_i32_e32 vcc, 5, v3
	v_cmp_eq_u32_e64 s[0:1], 3, v3
	v_lshrrev_b32_e32 v16, 2, v2
	v_cvt_f64_f32_e32 v[2:3], v6
	s_or_b64 vcc, s[0:1], vcc
	v_addc_co_u32_e32 v6, vcc, 0, v16, vcc
	v_mul_f64 v[2:3], v[2:3], s[14:15]
	v_cmp_gt_i32_e32 vcc, 31, v18
	v_cndmask_b32_e32 v6, v4, v6, vcc
	v_cmp_ne_u32_e32 vcc, 0, v7
	v_cndmask_b32_e64 v7, 0, 1, vcc
	v_lshl_or_b32 v7, v7, 9, v4
	v_cmp_eq_u32_e32 vcc, s16, v18
	v_cndmask_b32_e32 v6, v6, v7, vcc
	v_and_or_b32 v2, v3, s18, v2
	v_lshrrev_b32_e32 v7, 16, v8
	v_cmp_ne_u32_e32 vcc, 0, v2
	v_and_or_b32 v6, v7, s10, v6
	v_cndmask_b32_e64 v2, 0, 1, vcc
	v_lshrrev_b32_e32 v7, 8, v3
	v_bfe_u32 v8, v3, 20, 11
	v_and_or_b32 v2, v7, s17, v2
	v_sub_u32_e32 v16, 0x3f1, v8
	v_or_b32_e32 v7, 0x1000, v2
	v_med3_i32 v16, v16, 0, 13
	v_lshrrev_b32_e32 v18, v16, v7
	v_lshlrev_b32_e32 v16, v16, v18
	v_cmp_ne_u32_e32 vcc, v16, v7
	v_cndmask_b32_e64 v7, 0, 1, vcc
	v_add_u32_e32 v8, 0xfffffc10, v8
	v_or_b32_e32 v7, v18, v7
	v_lshl_or_b32 v16, v8, 12, v2
	v_cmp_gt_i32_e32 vcc, 1, v8
	v_cndmask_b32_e32 v7, v16, v7, vcc
	v_and_b32_e32 v16, 7, v7
	v_cmp_lt_i32_e32 vcc, 5, v16
	v_cmp_eq_u32_e64 s[0:1], 3, v16
	v_lshrrev_b32_e32 v7, 2, v7
	s_or_b64 vcc, s[0:1], vcc
	v_addc_co_u32_e32 v7, vcc, 0, v7, vcc
	v_cmp_gt_i32_e32 vcc, 31, v8
	v_cndmask_b32_e32 v7, v4, v7, vcc
	v_cmp_ne_u32_e32 vcc, 0, v2
	v_cndmask_b32_e64 v2, 0, 1, vcc
	v_lshl_or_b32 v2, v2, 9, v4
	v_cmp_eq_u32_e32 vcc, s16, v8
	v_cndmask_b32_e32 v2, v7, v2, vcc
	v_lshrrev_b32_e32 v7, 16, v17
	s_waitcnt vmcnt(6)
	v_mul_f16_sdwa v8, v7, v9 dst_sel:DWORD dst_unused:UNUSED_PAD src0_sel:DWORD src1_sel:WORD_1
	v_fma_f16 v8, v17, v9, v8
	v_cvt_f32_f16_e32 v8, v8
	v_lshrrev_b32_e32 v3, 16, v3
	v_and_or_b32 v2, v3, s10, v2
	v_and_b32_e32 v3, 0xffff, v6
	v_lshl_or_b32 v6, v2, 16, v3
	v_cvt_f64_f32_e32 v[2:3], v8
	s_mul_i32 s0, s9, 0x120
	s_add_i32 s2, s2, s0
	s_mul_i32 s3, s8, 0x120
	v_mul_f64 v[2:3], v[2:3], s[14:15]
	v_mov_b32_e32 v8, s2
	v_add_co_u32_e32 v0, vcc, s3, v0
	v_addc_co_u32_e32 v1, vcc, v1, v8, vcc
	global_store_dword v[0:1], v6, off
	v_mul_f16_sdwa v17, v17, v9 dst_sel:DWORD dst_unused:UNUSED_PAD src0_sel:DWORD src1_sel:WORD_1
	v_and_or_b32 v2, v3, s18, v2
	v_cmp_ne_u32_e32 vcc, 0, v2
	v_cndmask_b32_e64 v2, 0, 1, vcc
	v_lshrrev_b32_e32 v6, 8, v3
	v_bfe_u32 v8, v3, 20, 11
	v_and_or_b32 v2, v6, s17, v2
	v_sub_u32_e32 v16, 0x3f1, v8
	v_or_b32_e32 v6, 0x1000, v2
	v_med3_i32 v16, v16, 0, 13
	v_lshrrev_b32_e32 v18, v16, v6
	v_lshlrev_b32_e32 v16, v16, v18
	v_fma_f16 v7, v9, v7, -v17
	v_cmp_ne_u32_e32 vcc, v16, v6
	v_cvt_f32_f16_e32 v7, v7
	v_cndmask_b32_e64 v6, 0, 1, vcc
	v_add_u32_e32 v8, 0xfffffc10, v8
	v_or_b32_e32 v6, v18, v6
	v_lshl_or_b32 v16, v8, 12, v2
	v_cmp_gt_i32_e32 vcc, 1, v8
	v_cndmask_b32_e32 v6, v16, v6, vcc
	v_and_b32_e32 v16, 7, v6
	v_lshrrev_b32_e32 v9, 2, v6
	v_cvt_f64_f32_e32 v[6:7], v7
	v_cmp_lt_i32_e32 vcc, 5, v16
	v_cmp_eq_u32_e64 s[0:1], 3, v16
	s_or_b64 vcc, s[0:1], vcc
	v_mul_f64 v[6:7], v[6:7], s[14:15]
	v_addc_co_u32_e32 v9, vcc, 0, v9, vcc
	v_cmp_gt_i32_e32 vcc, 31, v8
	v_cndmask_b32_e32 v9, v4, v9, vcc
	v_cmp_ne_u32_e32 vcc, 0, v2
	v_cndmask_b32_e64 v2, 0, 1, vcc
	v_lshl_or_b32 v2, v2, 9, v4
	v_cmp_eq_u32_e32 vcc, s16, v8
	v_cndmask_b32_e32 v2, v9, v2, vcc
	v_lshrrev_b32_e32 v3, 16, v3
	v_and_or_b32 v16, v3, s10, v2
	v_and_or_b32 v2, v7, s18, v6
	v_cmp_ne_u32_e32 vcc, 0, v2
	v_cndmask_b32_e64 v2, 0, 1, vcc
	v_lshrrev_b32_e32 v3, 8, v7
	v_and_or_b32 v6, v3, s17, v2
	v_bfe_u32 v3, v7, 20, 11
	v_sub_u32_e32 v8, 0x3f1, v3
	v_or_b32_e32 v2, 0x1000, v6
	v_med3_i32 v8, v8, 0, 13
	v_lshrrev_b32_e32 v9, v8, v2
	v_lshlrev_b32_e32 v8, v8, v9
	v_cmp_ne_u32_e32 vcc, v8, v2
	v_cndmask_b32_e64 v2, 0, 1, vcc
	v_add_u32_e32 v8, 0xfffffc10, v3
	v_or_b32_e32 v2, v9, v2
	v_lshl_or_b32 v3, v8, 12, v6
	v_cmp_gt_i32_e32 vcc, 1, v8
	v_cndmask_b32_e32 v2, v3, v2, vcc
	v_and_b32_e32 v3, 7, v2
	v_cmp_lt_i32_e32 vcc, 5, v3
	v_cmp_eq_u32_e64 s[0:1], 3, v3
	v_lshrrev_b32_e32 v2, 2, v2
	s_or_b64 vcc, s[0:1], vcc
	v_addc_co_u32_e32 v9, vcc, 0, v2, vcc
	v_add_u32_e32 v2, 0x200, v5
	ds_read2_b32 v[2:3], v2 offset0:88 offset1:160
	v_cmp_gt_i32_e32 vcc, 31, v8
	v_cndmask_b32_e32 v9, v4, v9, vcc
	v_cmp_ne_u32_e32 vcc, 0, v6
	v_cndmask_b32_e64 v6, 0, 1, vcc
	s_waitcnt lgkmcnt(0)
	v_lshrrev_b32_e32 v17, 16, v2
	s_waitcnt vmcnt(6)
	v_mul_f16_sdwa v18, v17, v10 dst_sel:DWORD dst_unused:UNUSED_PAD src0_sel:DWORD src1_sel:WORD_1
	v_fma_f16 v18, v2, v10, v18
	v_cvt_f32_f16_e32 v18, v18
	v_lshl_or_b32 v6, v6, 9, v4
	v_cmp_eq_u32_e32 vcc, s16, v8
	v_cndmask_b32_e32 v6, v9, v6, vcc
	v_cvt_f64_f32_e32 v[8:9], v18
	v_lshrrev_b32_e32 v7, 16, v7
	v_and_or_b32 v18, v7, s10, v6
	v_add_co_u32_e32 v0, vcc, s3, v0
	v_mul_f64 v[6:7], v[8:9], s[14:15]
	v_mov_b32_e32 v9, s2
	v_and_b32_e32 v16, 0xffff, v16
	v_addc_co_u32_e32 v1, vcc, v1, v9, vcc
	v_lshl_or_b32 v8, v18, 16, v16
	global_store_dword v[0:1], v8, off
	v_mul_f16_sdwa v2, v2, v10 dst_sel:DWORD dst_unused:UNUSED_PAD src0_sel:DWORD src1_sel:WORD_1
	v_and_or_b32 v6, v7, s18, v6
	v_cmp_ne_u32_e32 vcc, 0, v6
	v_cndmask_b32_e64 v6, 0, 1, vcc
	v_lshrrev_b32_e32 v8, 8, v7
	v_bfe_u32 v9, v7, 20, 11
	v_and_or_b32 v6, v8, s17, v6
	v_sub_u32_e32 v16, 0x3f1, v9
	v_or_b32_e32 v8, 0x1000, v6
	v_med3_i32 v16, v16, 0, 13
	v_lshrrev_b32_e32 v18, v16, v8
	v_lshlrev_b32_e32 v16, v16, v18
	v_cmp_ne_u32_e32 vcc, v16, v8
	v_fma_f16 v2, v10, v17, -v2
	v_cndmask_b32_e64 v8, 0, 1, vcc
	v_add_u32_e32 v16, 0xfffffc10, v9
	v_cvt_f32_f16_e32 v2, v2
	v_or_b32_e32 v8, v18, v8
	v_lshl_or_b32 v9, v16, 12, v6
	v_cmp_gt_i32_e32 vcc, 1, v16
	v_cndmask_b32_e32 v8, v9, v8, vcc
	v_and_b32_e32 v9, 7, v8
	v_cmp_lt_i32_e32 vcc, 5, v9
	v_cmp_eq_u32_e64 s[0:1], 3, v9
	v_lshrrev_b32_e32 v10, 2, v8
	v_cvt_f64_f32_e32 v[8:9], v2
	s_or_b64 vcc, s[0:1], vcc
	v_addc_co_u32_e32 v2, vcc, 0, v10, vcc
	v_mul_f64 v[8:9], v[8:9], s[14:15]
	v_cmp_gt_i32_e32 vcc, 31, v16
	v_cndmask_b32_e32 v2, v4, v2, vcc
	v_cmp_ne_u32_e32 vcc, 0, v6
	v_cndmask_b32_e64 v6, 0, 1, vcc
	v_lshl_or_b32 v6, v6, 9, v4
	v_cmp_eq_u32_e32 vcc, s16, v16
	v_cndmask_b32_e32 v2, v2, v6, vcc
	v_lshrrev_b32_e32 v6, 16, v7
	v_and_or_b32 v2, v6, s10, v2
	v_and_or_b32 v6, v9, s18, v8
	v_cmp_ne_u32_e32 vcc, 0, v6
	v_cndmask_b32_e64 v6, 0, 1, vcc
	v_lshrrev_b32_e32 v7, 8, v9
	v_bfe_u32 v8, v9, 20, 11
	v_and_or_b32 v6, v7, s17, v6
	v_sub_u32_e32 v10, 0x3f1, v8
	v_or_b32_e32 v7, 0x1000, v6
	v_med3_i32 v10, v10, 0, 13
	v_lshrrev_b32_e32 v16, v10, v7
	v_lshlrev_b32_e32 v10, v10, v16
	v_cmp_ne_u32_e32 vcc, v10, v7
	v_cndmask_b32_e64 v7, 0, 1, vcc
	v_add_u32_e32 v8, 0xfffffc10, v8
	v_or_b32_e32 v7, v16, v7
	v_lshl_or_b32 v10, v8, 12, v6
	v_cmp_gt_i32_e32 vcc, 1, v8
	v_cndmask_b32_e32 v7, v10, v7, vcc
	v_and_b32_e32 v10, 7, v7
	v_cmp_lt_i32_e32 vcc, 5, v10
	v_cmp_eq_u32_e64 s[0:1], 3, v10
	v_lshrrev_b32_e32 v10, 16, v3
	v_lshrrev_b32_e32 v7, 2, v7
	s_or_b64 vcc, s[0:1], vcc
	s_waitcnt vmcnt(6)
	v_mul_f16_sdwa v16, v10, v11 dst_sel:DWORD dst_unused:UNUSED_PAD src0_sel:DWORD src1_sel:WORD_1
	v_addc_co_u32_e32 v7, vcc, 0, v7, vcc
	v_fma_f16 v16, v3, v11, v16
	v_cmp_gt_i32_e32 vcc, 31, v8
	v_cvt_f32_f16_e32 v16, v16
	v_cndmask_b32_e32 v7, v4, v7, vcc
	v_cmp_ne_u32_e32 vcc, 0, v6
	v_cndmask_b32_e64 v6, 0, 1, vcc
	v_lshl_or_b32 v6, v6, 9, v4
	v_cmp_eq_u32_e32 vcc, s16, v8
	v_cndmask_b32_e32 v8, v7, v6, vcc
	v_cvt_f64_f32_e32 v[6:7], v16
	v_lshrrev_b32_e32 v9, 16, v9
	v_and_or_b32 v8, v9, s10, v8
	v_and_b32_e32 v2, 0xffff, v2
	v_mul_f64 v[6:7], v[6:7], s[14:15]
	v_lshl_or_b32 v2, v8, 16, v2
	v_mov_b32_e32 v8, s2
	v_add_co_u32_e32 v0, vcc, s3, v0
	v_addc_co_u32_e32 v1, vcc, v1, v8, vcc
	global_store_dword v[0:1], v2, off
	v_and_or_b32 v2, v7, s18, v6
	v_cmp_ne_u32_e32 vcc, 0, v2
	v_cndmask_b32_e64 v2, 0, 1, vcc
	v_lshrrev_b32_e32 v6, 8, v7
	v_bfe_u32 v8, v7, 20, 11
	v_and_or_b32 v6, v6, s17, v2
	v_sub_u32_e32 v9, 0x3f1, v8
	v_or_b32_e32 v2, 0x1000, v6
	v_med3_i32 v9, v9, 0, 13
	v_lshrrev_b32_e32 v16, v9, v2
	v_lshlrev_b32_e32 v9, v9, v16
	v_mul_f16_sdwa v3, v3, v11 dst_sel:DWORD dst_unused:UNUSED_PAD src0_sel:DWORD src1_sel:WORD_1
	v_cmp_ne_u32_e32 vcc, v9, v2
	v_fma_f16 v3, v11, v10, -v3
	v_cndmask_b32_e64 v2, 0, 1, vcc
	v_add_u32_e32 v8, 0xfffffc10, v8
	v_cvt_f32_f16_e32 v3, v3
	v_or_b32_e32 v2, v16, v2
	v_lshl_or_b32 v9, v8, 12, v6
	v_cmp_gt_i32_e32 vcc, 1, v8
	v_cndmask_b32_e32 v2, v9, v2, vcc
	v_and_b32_e32 v9, 7, v2
	v_cmp_lt_i32_e32 vcc, 5, v9
	v_cmp_eq_u32_e64 s[0:1], 3, v9
	v_lshrrev_b32_e32 v9, 2, v2
	v_cvt_f64_f32_e32 v[2:3], v3
	s_or_b64 vcc, s[0:1], vcc
	v_addc_co_u32_e32 v9, vcc, 0, v9, vcc
	v_mul_f64 v[2:3], v[2:3], s[14:15]
	v_cmp_gt_i32_e32 vcc, 31, v8
	v_cndmask_b32_e32 v9, v4, v9, vcc
	v_cmp_ne_u32_e32 vcc, 0, v6
	v_cndmask_b32_e64 v6, 0, 1, vcc
	v_lshl_or_b32 v6, v6, 9, v4
	v_cmp_eq_u32_e32 vcc, s16, v8
	v_cndmask_b32_e32 v6, v9, v6, vcc
	v_and_or_b32 v2, v3, s18, v2
	v_lshrrev_b32_e32 v7, 16, v7
	v_cmp_ne_u32_e32 vcc, 0, v2
	v_and_or_b32 v10, v7, s10, v6
	v_cndmask_b32_e64 v2, 0, 1, vcc
	v_lshrrev_b32_e32 v6, 8, v3
	v_bfe_u32 v7, v3, 20, 11
	v_and_or_b32 v2, v6, s17, v2
	v_sub_u32_e32 v8, 0x3f1, v7
	v_or_b32_e32 v6, 0x1000, v2
	v_med3_i32 v8, v8, 0, 13
	v_lshrrev_b32_e32 v9, v8, v6
	v_lshlrev_b32_e32 v8, v8, v9
	v_cmp_ne_u32_e32 vcc, v8, v6
	v_cndmask_b32_e64 v6, 0, 1, vcc
	v_add_u32_e32 v8, 0xfffffc10, v7
	v_or_b32_e32 v6, v9, v6
	v_lshl_or_b32 v7, v8, 12, v2
	v_cmp_gt_i32_e32 vcc, 1, v8
	v_cndmask_b32_e32 v6, v7, v6, vcc
	v_and_b32_e32 v7, 7, v6
	v_cmp_lt_i32_e32 vcc, 5, v7
	v_cmp_eq_u32_e64 s[0:1], 3, v7
	v_lshrrev_b32_e32 v6, 2, v6
	s_or_b64 vcc, s[0:1], vcc
	v_addc_co_u32_e32 v9, vcc, 0, v6, vcc
	v_add_u32_e32 v6, 0x400, v5
	ds_read2_b32 v[6:7], v6 offset0:104 offset1:176
	v_cmp_gt_i32_e32 vcc, 31, v8
	v_cndmask_b32_e32 v9, v4, v9, vcc
	v_cmp_ne_u32_e32 vcc, 0, v2
	v_cndmask_b32_e64 v2, 0, 1, vcc
	s_waitcnt lgkmcnt(0)
	v_lshrrev_b32_e32 v11, 16, v6
	s_waitcnt vmcnt(6)
	v_mul_f16_sdwa v16, v11, v13 dst_sel:DWORD dst_unused:UNUSED_PAD src0_sel:DWORD src1_sel:WORD_1
	v_fma_f16 v16, v6, v13, v16
	v_cvt_f32_f16_e32 v16, v16
	v_lshl_or_b32 v2, v2, 9, v4
	v_cmp_eq_u32_e32 vcc, s16, v8
	v_cndmask_b32_e32 v2, v9, v2, vcc
	v_cvt_f64_f32_e32 v[8:9], v16
	v_lshrrev_b32_e32 v3, 16, v3
	v_and_or_b32 v16, v3, s10, v2
	v_add_co_u32_e32 v0, vcc, s3, v0
	v_mul_f64 v[2:3], v[8:9], s[14:15]
	v_mov_b32_e32 v9, s2
	v_and_b32_e32 v10, 0xffff, v10
	v_addc_co_u32_e32 v1, vcc, v1, v9, vcc
	v_lshl_or_b32 v8, v16, 16, v10
	global_store_dword v[0:1], v8, off
	v_mul_f16_sdwa v6, v6, v13 dst_sel:DWORD dst_unused:UNUSED_PAD src0_sel:DWORD src1_sel:WORD_1
	v_and_or_b32 v2, v3, s18, v2
	v_cmp_ne_u32_e32 vcc, 0, v2
	v_cndmask_b32_e64 v2, 0, 1, vcc
	v_lshrrev_b32_e32 v8, 8, v3
	v_bfe_u32 v9, v3, 20, 11
	v_and_or_b32 v2, v8, s17, v2
	v_sub_u32_e32 v10, 0x3f1, v9
	v_or_b32_e32 v8, 0x1000, v2
	v_med3_i32 v10, v10, 0, 13
	v_lshrrev_b32_e32 v16, v10, v8
	v_lshlrev_b32_e32 v10, v10, v16
	v_cmp_ne_u32_e32 vcc, v10, v8
	v_fma_f16 v6, v13, v11, -v6
	v_cndmask_b32_e64 v8, 0, 1, vcc
	v_add_u32_e32 v10, 0xfffffc10, v9
	v_cvt_f32_f16_e32 v6, v6
	v_or_b32_e32 v8, v16, v8
	v_lshl_or_b32 v9, v10, 12, v2
	v_cmp_gt_i32_e32 vcc, 1, v10
	v_cndmask_b32_e32 v8, v9, v8, vcc
	v_and_b32_e32 v9, 7, v8
	v_cmp_lt_i32_e32 vcc, 5, v9
	v_cmp_eq_u32_e64 s[0:1], 3, v9
	v_lshrrev_b32_e32 v11, 2, v8
	v_cvt_f64_f32_e32 v[8:9], v6
	s_or_b64 vcc, s[0:1], vcc
	v_addc_co_u32_e32 v6, vcc, 0, v11, vcc
	v_mul_f64 v[8:9], v[8:9], s[14:15]
	v_cmp_gt_i32_e32 vcc, 31, v10
	v_cndmask_b32_e32 v6, v4, v6, vcc
	v_cmp_ne_u32_e32 vcc, 0, v2
	v_cndmask_b32_e64 v2, 0, 1, vcc
	v_lshl_or_b32 v2, v2, 9, v4
	v_cmp_eq_u32_e32 vcc, s16, v10
	v_cndmask_b32_e32 v2, v6, v2, vcc
	v_lshrrev_b32_e32 v3, 16, v3
	v_and_or_b32 v6, v3, s10, v2
	v_and_or_b32 v2, v9, s18, v8
	v_cmp_ne_u32_e32 vcc, 0, v2
	v_cndmask_b32_e64 v2, 0, 1, vcc
	v_lshrrev_b32_e32 v3, 8, v9
	v_bfe_u32 v8, v9, 20, 11
	v_and_or_b32 v2, v3, s17, v2
	v_sub_u32_e32 v10, 0x3f1, v8
	v_or_b32_e32 v3, 0x1000, v2
	v_med3_i32 v10, v10, 0, 13
	v_lshrrev_b32_e32 v11, v10, v3
	v_lshlrev_b32_e32 v10, v10, v11
	v_cmp_ne_u32_e32 vcc, v10, v3
	v_cndmask_b32_e64 v3, 0, 1, vcc
	v_add_u32_e32 v8, 0xfffffc10, v8
	v_or_b32_e32 v3, v11, v3
	v_lshl_or_b32 v10, v8, 12, v2
	v_cmp_gt_i32_e32 vcc, 1, v8
	v_cndmask_b32_e32 v3, v10, v3, vcc
	v_and_b32_e32 v10, 7, v3
	v_cmp_lt_i32_e32 vcc, 5, v10
	v_cmp_eq_u32_e64 s[0:1], 3, v10
	v_lshrrev_b32_e32 v10, 16, v7
	v_lshrrev_b32_e32 v3, 2, v3
	s_or_b64 vcc, s[0:1], vcc
	s_waitcnt vmcnt(6)
	v_mul_f16_sdwa v11, v10, v14 dst_sel:DWORD dst_unused:UNUSED_PAD src0_sel:DWORD src1_sel:WORD_1
	v_addc_co_u32_e32 v3, vcc, 0, v3, vcc
	v_fma_f16 v11, v7, v14, v11
	v_cmp_gt_i32_e32 vcc, 31, v8
	v_cvt_f32_f16_e32 v11, v11
	v_cndmask_b32_e32 v3, v4, v3, vcc
	v_cmp_ne_u32_e32 vcc, 0, v2
	v_cndmask_b32_e64 v2, 0, 1, vcc
	v_lshl_or_b32 v2, v2, 9, v4
	v_cmp_eq_u32_e32 vcc, s16, v8
	v_cndmask_b32_e32 v8, v3, v2, vcc
	v_cvt_f64_f32_e32 v[2:3], v11
	v_lshrrev_b32_e32 v9, 16, v9
	v_and_or_b32 v8, v9, s10, v8
	v_and_b32_e32 v6, 0xffff, v6
	v_mul_f64 v[2:3], v[2:3], s[14:15]
	v_lshl_or_b32 v6, v8, 16, v6
	v_mov_b32_e32 v8, s2
	v_add_co_u32_e32 v0, vcc, s3, v0
	v_addc_co_u32_e32 v1, vcc, v1, v8, vcc
	global_store_dword v[0:1], v6, off
	v_and_or_b32 v2, v3, s18, v2
	v_cmp_ne_u32_e32 vcc, 0, v2
	v_cndmask_b32_e64 v2, 0, 1, vcc
	v_lshrrev_b32_e32 v6, 8, v3
	v_bfe_u32 v8, v3, 20, 11
	v_and_or_b32 v2, v6, s17, v2
	v_sub_u32_e32 v9, 0x3f1, v8
	v_or_b32_e32 v6, 0x1000, v2
	v_med3_i32 v9, v9, 0, 13
	v_lshrrev_b32_e32 v11, v9, v6
	v_lshlrev_b32_e32 v9, v9, v11
	v_mul_f16_sdwa v7, v7, v14 dst_sel:DWORD dst_unused:UNUSED_PAD src0_sel:DWORD src1_sel:WORD_1
	v_cmp_ne_u32_e32 vcc, v9, v6
	v_fma_f16 v7, v14, v10, -v7
	v_cndmask_b32_e64 v6, 0, 1, vcc
	v_add_u32_e32 v8, 0xfffffc10, v8
	v_cvt_f32_f16_e32 v7, v7
	v_or_b32_e32 v6, v11, v6
	v_lshl_or_b32 v9, v8, 12, v2
	v_cmp_gt_i32_e32 vcc, 1, v8
	v_cndmask_b32_e32 v6, v9, v6, vcc
	v_and_b32_e32 v9, 7, v6
	v_cmp_lt_i32_e32 vcc, 5, v9
	v_cmp_eq_u32_e64 s[0:1], 3, v9
	v_lshrrev_b32_e32 v9, 2, v6
	v_cvt_f64_f32_e32 v[6:7], v7
	s_or_b64 vcc, s[0:1], vcc
	v_addc_co_u32_e32 v9, vcc, 0, v9, vcc
	v_mul_f64 v[6:7], v[6:7], s[14:15]
	v_cmp_gt_i32_e32 vcc, 31, v8
	v_cndmask_b32_e32 v9, v4, v9, vcc
	v_cmp_ne_u32_e32 vcc, 0, v2
	v_cndmask_b32_e64 v2, 0, 1, vcc
	v_lshl_or_b32 v2, v2, 9, v4
	v_cmp_eq_u32_e32 vcc, s16, v8
	v_cndmask_b32_e32 v2, v9, v2, vcc
	v_lshrrev_b32_e32 v3, 16, v3
	v_and_or_b32 v8, v3, s10, v2
	v_and_or_b32 v2, v7, s18, v6
	v_cmp_ne_u32_e32 vcc, 0, v2
	v_cndmask_b32_e64 v2, 0, 1, vcc
	v_lshrrev_b32_e32 v3, 8, v7
	v_and_or_b32 v6, v3, s17, v2
	v_bfe_u32 v3, v7, 20, 11
	v_sub_u32_e32 v9, 0x3f1, v3
	v_or_b32_e32 v2, 0x1000, v6
	v_med3_i32 v9, v9, 0, 13
	v_lshrrev_b32_e32 v10, v9, v2
	v_lshlrev_b32_e32 v9, v9, v10
	v_cmp_ne_u32_e32 vcc, v9, v2
	v_cndmask_b32_e64 v2, 0, 1, vcc
	v_add_u32_e32 v9, 0xfffffc10, v3
	v_or_b32_e32 v2, v10, v2
	v_lshl_or_b32 v3, v9, 12, v6
	v_cmp_gt_i32_e32 vcc, 1, v9
	v_cndmask_b32_e32 v2, v3, v2, vcc
	v_and_b32_e32 v3, 7, v2
	v_cmp_lt_i32_e32 vcc, 5, v3
	v_cmp_eq_u32_e64 s[0:1], 3, v3
	v_lshrrev_b32_e32 v2, 2, v2
	s_or_b64 vcc, s[0:1], vcc
	v_addc_co_u32_e32 v10, vcc, 0, v2, vcc
	v_cmp_gt_i32_e32 vcc, 31, v9
	v_add_u32_e32 v2, 0x600, v5
	v_cndmask_b32_e32 v5, v4, v10, vcc
	v_cmp_ne_u32_e32 vcc, 0, v6
	v_cndmask_b32_e64 v6, 0, 1, vcc
	ds_read2_b32 v[2:3], v2 offset0:120 offset1:192
	v_lshl_or_b32 v6, v6, 9, v4
	v_cmp_eq_u32_e32 vcc, s16, v9
	v_cndmask_b32_e32 v9, v5, v6, vcc
	v_lshrrev_b32_e32 v7, 16, v7
	v_and_or_b32 v7, v7, s10, v9
	global_load_dword v9, v28, s[6:7] offset:2304
	s_waitcnt lgkmcnt(0)
	v_lshrrev_b32_e32 v10, 16, v2
	s_waitcnt vmcnt(7)
	v_mul_f16_sdwa v11, v10, v15 dst_sel:DWORD dst_unused:UNUSED_PAD src0_sel:DWORD src1_sel:WORD_1
	v_fma_f16 v11, v2, v15, v11
	v_cvt_f32_f16_e32 v11, v11
	v_and_b32_e32 v8, 0xffff, v8
	v_lshl_or_b32 v7, v7, 16, v8
	v_mov_b32_e32 v8, s2
	v_cvt_f64_f32_e32 v[5:6], v11
	v_add_co_u32_e32 v0, vcc, s3, v0
	v_addc_co_u32_e32 v1, vcc, v1, v8, vcc
	v_mul_f64 v[5:6], v[5:6], s[14:15]
	global_store_dword v[0:1], v7, off
	v_mul_f16_sdwa v2, v2, v15 dst_sel:DWORD dst_unused:UNUSED_PAD src0_sel:DWORD src1_sel:WORD_1
	v_fma_f16 v2, v15, v10, -v2
	v_cvt_f32_f16_e32 v2, v2
	v_and_or_b32 v5, v6, s18, v5
	v_cmp_ne_u32_e32 vcc, 0, v5
	v_cndmask_b32_e64 v5, 0, 1, vcc
	v_lshrrev_b32_e32 v7, 8, v6
	v_bfe_u32 v8, v6, 20, 11
	v_and_or_b32 v5, v7, s17, v5
	v_sub_u32_e32 v11, 0x3f1, v8
	v_or_b32_e32 v7, 0x1000, v5
	v_med3_i32 v11, v11, 0, 13
	v_lshrrev_b32_e32 v13, v11, v7
	v_lshlrev_b32_e32 v11, v11, v13
	v_cmp_ne_u32_e32 vcc, v11, v7
	v_cndmask_b32_e64 v7, 0, 1, vcc
	v_add_u32_e32 v11, 0xfffffc10, v8
	v_or_b32_e32 v7, v13, v7
	v_lshl_or_b32 v8, v11, 12, v5
	v_cmp_gt_i32_e32 vcc, 1, v11
	v_cndmask_b32_e32 v7, v8, v7, vcc
	v_and_b32_e32 v8, 7, v7
	v_cmp_lt_i32_e32 vcc, 5, v8
	v_cmp_eq_u32_e64 s[0:1], 3, v8
	v_lshrrev_b32_e32 v10, 2, v7
	v_cvt_f64_f32_e32 v[7:8], v2
	s_or_b64 vcc, s[0:1], vcc
	v_addc_co_u32_e32 v2, vcc, 0, v10, vcc
	v_mul_f64 v[7:8], v[7:8], s[14:15]
	v_cmp_gt_i32_e32 vcc, 31, v11
	v_cndmask_b32_e32 v2, v4, v2, vcc
	v_cmp_ne_u32_e32 vcc, 0, v5
	v_cndmask_b32_e64 v5, 0, 1, vcc
	v_lshl_or_b32 v5, v5, 9, v4
	v_cmp_eq_u32_e32 vcc, s16, v11
	v_cndmask_b32_e32 v2, v2, v5, vcc
	v_lshrrev_b32_e32 v5, 16, v6
	v_and_or_b32 v2, v5, s10, v2
	v_and_or_b32 v5, v8, s18, v7
	v_cmp_ne_u32_e32 vcc, 0, v5
	v_cndmask_b32_e64 v5, 0, 1, vcc
	v_lshrrev_b32_e32 v6, 8, v8
	v_bfe_u32 v7, v8, 20, 11
	v_and_or_b32 v5, v6, s17, v5
	v_sub_u32_e32 v10, 0x3f1, v7
	v_or_b32_e32 v6, 0x1000, v5
	v_med3_i32 v10, v10, 0, 13
	v_lshrrev_b32_e32 v11, v10, v6
	v_lshlrev_b32_e32 v10, v10, v11
	v_cmp_ne_u32_e32 vcc, v10, v6
	v_cndmask_b32_e64 v6, 0, 1, vcc
	v_or_b32_e32 v6, v11, v6
	global_load_dword v11, v28, s[6:7] offset:2592
	v_add_u32_e32 v7, 0xfffffc10, v7
	v_lshl_or_b32 v10, v7, 12, v5
	v_cmp_gt_i32_e32 vcc, 1, v7
	v_cndmask_b32_e32 v6, v10, v6, vcc
	v_and_b32_e32 v10, 7, v6
	v_cmp_lt_i32_e32 vcc, 5, v10
	v_cmp_eq_u32_e64 s[0:1], 3, v10
	v_lshrrev_b32_e32 v10, 16, v3
	v_lshrrev_b32_e32 v6, 2, v6
	s_or_b64 vcc, s[0:1], vcc
	s_waitcnt vmcnt(2)
	v_mul_f16_sdwa v13, v10, v9 dst_sel:DWORD dst_unused:UNUSED_PAD src0_sel:DWORD src1_sel:WORD_1
	v_addc_co_u32_e32 v6, vcc, 0, v6, vcc
	v_fma_f16 v13, v3, v9, v13
	v_cmp_gt_i32_e32 vcc, 31, v7
	v_cvt_f32_f16_e32 v13, v13
	v_cndmask_b32_e32 v6, v4, v6, vcc
	v_cmp_ne_u32_e32 vcc, 0, v5
	v_cndmask_b32_e64 v5, 0, 1, vcc
	v_lshl_or_b32 v5, v5, 9, v4
	v_cmp_eq_u32_e32 vcc, s16, v7
	v_cndmask_b32_e32 v7, v6, v5, vcc
	v_cvt_f64_f32_e32 v[5:6], v13
	v_lshrrev_b32_e32 v8, 16, v8
	v_and_or_b32 v7, v8, s10, v7
	v_and_b32_e32 v2, 0xffff, v2
	v_mul_f64 v[5:6], v[5:6], s[14:15]
	v_lshl_or_b32 v2, v7, 16, v2
	v_mov_b32_e32 v7, s2
	v_add_co_u32_e32 v0, vcc, s3, v0
	v_addc_co_u32_e32 v1, vcc, v1, v7, vcc
	global_store_dword v[0:1], v2, off
	v_and_or_b32 v2, v6, s18, v5
	v_cmp_ne_u32_e32 vcc, 0, v2
	v_cndmask_b32_e64 v2, 0, 1, vcc
	v_lshrrev_b32_e32 v5, 8, v6
	v_bfe_u32 v7, v6, 20, 11
	v_and_or_b32 v5, v5, s17, v2
	v_sub_u32_e32 v8, 0x3f1, v7
	v_or_b32_e32 v2, 0x1000, v5
	v_med3_i32 v8, v8, 0, 13
	v_lshrrev_b32_e32 v13, v8, v2
	v_lshlrev_b32_e32 v8, v8, v13
	v_mul_f16_sdwa v3, v3, v9 dst_sel:DWORD dst_unused:UNUSED_PAD src0_sel:DWORD src1_sel:WORD_1
	v_cmp_ne_u32_e32 vcc, v8, v2
	v_fma_f16 v3, v9, v10, -v3
	v_cndmask_b32_e64 v2, 0, 1, vcc
	v_add_u32_e32 v7, 0xfffffc10, v7
	v_cvt_f32_f16_e32 v3, v3
	v_or_b32_e32 v2, v13, v2
	v_lshl_or_b32 v8, v7, 12, v5
	v_cmp_gt_i32_e32 vcc, 1, v7
	v_cndmask_b32_e32 v2, v8, v2, vcc
	v_and_b32_e32 v8, 7, v2
	v_cmp_lt_i32_e32 vcc, 5, v8
	v_cmp_eq_u32_e64 s[0:1], 3, v8
	v_lshrrev_b32_e32 v8, 2, v2
	v_cvt_f64_f32_e32 v[2:3], v3
	s_or_b64 vcc, s[0:1], vcc
	v_addc_co_u32_e32 v8, vcc, 0, v8, vcc
	v_mul_f64 v[2:3], v[2:3], s[14:15]
	v_cmp_gt_i32_e32 vcc, 31, v7
	v_cndmask_b32_e32 v8, v4, v8, vcc
	v_cmp_ne_u32_e32 vcc, 0, v5
	v_cndmask_b32_e64 v5, 0, 1, vcc
	v_lshl_or_b32 v5, v5, 9, v4
	v_cmp_eq_u32_e32 vcc, s16, v7
	v_cndmask_b32_e32 v5, v8, v5, vcc
	v_and_or_b32 v2, v3, s18, v2
	v_lshrrev_b32_e32 v6, 16, v6
	v_cmp_ne_u32_e32 vcc, 0, v2
	v_and_or_b32 v7, v6, s10, v5
	v_cndmask_b32_e64 v2, 0, 1, vcc
	v_lshrrev_b32_e32 v5, 8, v3
	v_bfe_u32 v6, v3, 20, 11
	v_and_or_b32 v2, v5, s17, v2
	v_sub_u32_e32 v8, 0x3f1, v6
	v_or_b32_e32 v5, 0x1000, v2
	v_med3_i32 v8, v8, 0, 13
	v_lshrrev_b32_e32 v9, v8, v5
	v_lshlrev_b32_e32 v8, v8, v9
	v_cmp_ne_u32_e32 vcc, v8, v5
	v_cndmask_b32_e64 v5, 0, 1, vcc
	v_add_u32_e32 v6, 0xfffffc10, v6
	v_or_b32_e32 v5, v9, v5
	v_lshl_or_b32 v8, v6, 12, v2
	v_cmp_gt_i32_e32 vcc, 1, v6
	v_cndmask_b32_e32 v5, v8, v5, vcc
	v_and_b32_e32 v8, 7, v5
	v_cmp_lt_i32_e32 vcc, 5, v8
	v_cmp_eq_u32_e64 s[0:1], 3, v8
	v_lshrrev_b32_e32 v8, 16, v12
	v_lshrrev_b32_e32 v5, 2, v5
	s_or_b64 vcc, s[0:1], vcc
	s_waitcnt vmcnt(1)
	v_mul_f16_sdwa v9, v8, v11 dst_sel:DWORD dst_unused:UNUSED_PAD src0_sel:DWORD src1_sel:WORD_1
	v_addc_co_u32_e32 v5, vcc, 0, v5, vcc
	v_fma_f16 v9, v12, v11, v9
	v_cmp_gt_i32_e32 vcc, 31, v6
	v_cvt_f32_f16_e32 v9, v9
	v_cndmask_b32_e32 v5, v4, v5, vcc
	v_cmp_ne_u32_e32 vcc, 0, v2
	v_cndmask_b32_e64 v2, 0, 1, vcc
	v_lshl_or_b32 v2, v2, 9, v4
	v_cmp_eq_u32_e32 vcc, s16, v6
	v_cndmask_b32_e32 v2, v5, v2, vcc
	v_cvt_f64_f32_e32 v[5:6], v9
	v_lshrrev_b32_e32 v3, 16, v3
	v_and_or_b32 v9, v3, s10, v2
	v_add_co_u32_e32 v0, vcc, s3, v0
	v_mul_f64 v[2:3], v[5:6], s[14:15]
	v_mov_b32_e32 v6, s2
	v_and_b32_e32 v7, 0xffff, v7
	v_addc_co_u32_e32 v1, vcc, v1, v6, vcc
	v_lshl_or_b32 v5, v9, 16, v7
	global_store_dword v[0:1], v5, off
	v_and_or_b32 v2, v3, s18, v2
	v_cmp_ne_u32_e32 vcc, 0, v2
	v_cndmask_b32_e64 v2, 0, 1, vcc
	v_lshrrev_b32_e32 v5, 8, v3
	v_bfe_u32 v6, v3, 20, 11
	v_and_or_b32 v2, v5, s17, v2
	v_sub_u32_e32 v7, 0x3f1, v6
	v_or_b32_e32 v5, 0x1000, v2
	v_med3_i32 v7, v7, 0, 13
	v_lshrrev_b32_e32 v9, v7, v5
	v_lshlrev_b32_e32 v7, v7, v9
	v_cmp_ne_u32_e32 vcc, v7, v5
	v_cndmask_b32_e64 v5, 0, 1, vcc
	v_or_b32_e32 v5, v9, v5
	v_mul_f16_sdwa v9, v12, v11 dst_sel:DWORD dst_unused:UNUSED_PAD src0_sel:DWORD src1_sel:WORD_1
	v_fma_f16 v8, v11, v8, -v9
	v_add_u32_e32 v7, 0xfffffc10, v6
	v_cvt_f32_f16_e32 v8, v8
	v_lshl_or_b32 v6, v7, 12, v2
	v_cmp_gt_i32_e32 vcc, 1, v7
	v_cndmask_b32_e32 v5, v6, v5, vcc
	v_and_b32_e32 v6, 7, v5
	v_cmp_lt_i32_e32 vcc, 5, v6
	v_cmp_eq_u32_e64 s[0:1], 3, v6
	v_lshrrev_b32_e32 v9, 2, v5
	v_cvt_f64_f32_e32 v[5:6], v8
	s_or_b64 vcc, s[0:1], vcc
	v_addc_co_u32_e32 v8, vcc, 0, v9, vcc
	v_mul_f64 v[5:6], v[5:6], s[14:15]
	v_cmp_gt_i32_e32 vcc, 31, v7
	v_cndmask_b32_e32 v8, v4, v8, vcc
	v_cmp_ne_u32_e32 vcc, 0, v2
	v_cndmask_b32_e64 v2, 0, 1, vcc
	v_lshl_or_b32 v2, v2, 9, v4
	v_cmp_eq_u32_e32 vcc, s16, v7
	v_cndmask_b32_e32 v2, v8, v2, vcc
	v_lshrrev_b32_e32 v3, 16, v3
	v_and_or_b32 v2, v3, s10, v2
	v_and_or_b32 v3, v6, s18, v5
	v_cmp_ne_u32_e32 vcc, 0, v3
	v_cndmask_b32_e64 v3, 0, 1, vcc
	v_lshrrev_b32_e32 v5, 8, v6
	v_bfe_u32 v7, v6, 20, 11
	v_and_or_b32 v3, v5, s17, v3
	v_sub_u32_e32 v8, 0x3f1, v7
	v_or_b32_e32 v5, 0x1000, v3
	v_med3_i32 v8, v8, 0, 13
	v_lshrrev_b32_e32 v9, v8, v5
	v_lshlrev_b32_e32 v8, v8, v9
	v_cmp_ne_u32_e32 vcc, v8, v5
	v_cndmask_b32_e64 v5, 0, 1, vcc
	v_add_u32_e32 v7, 0xfffffc10, v7
	v_or_b32_e32 v5, v9, v5
	v_lshl_or_b32 v8, v7, 12, v3
	v_cmp_gt_i32_e32 vcc, 1, v7
	v_cndmask_b32_e32 v5, v8, v5, vcc
	v_and_b32_e32 v8, 7, v5
	v_cmp_lt_i32_e32 vcc, 5, v8
	v_cmp_eq_u32_e64 s[0:1], 3, v8
	v_lshrrev_b32_e32 v5, 2, v5
	s_or_b64 vcc, s[0:1], vcc
	v_addc_co_u32_e32 v5, vcc, 0, v5, vcc
	v_cmp_gt_i32_e32 vcc, 31, v7
	v_cndmask_b32_e32 v5, v4, v5, vcc
	v_cmp_ne_u32_e32 vcc, 0, v3
	v_cndmask_b32_e64 v3, 0, 1, vcc
	v_lshl_or_b32 v3, v3, 9, v4
	v_cmp_eq_u32_e32 vcc, s16, v7
	v_cndmask_b32_e32 v3, v5, v3, vcc
	v_lshrrev_b32_e32 v4, 16, v6
	v_and_or_b32 v3, v4, s10, v3
	v_and_b32_e32 v2, 0xffff, v2
	v_lshl_or_b32 v2, v3, 16, v2
	v_mov_b32_e32 v3, s2
	v_add_co_u32_e32 v0, vcc, s3, v0
	v_addc_co_u32_e32 v1, vcc, v1, v3, vcc
	global_store_dword v[0:1], v2, off
.LBB0_23:
	s_endpgm
	.section	.rodata,"a",@progbits
	.p2align	6, 0x0
	.amdhsa_kernel bluestein_single_back_len720_dim1_half_op_CI_CI
		.amdhsa_group_segment_fixed_size 5760
		.amdhsa_private_segment_fixed_size 0
		.amdhsa_kernarg_size 104
		.amdhsa_user_sgpr_count 6
		.amdhsa_user_sgpr_private_segment_buffer 1
		.amdhsa_user_sgpr_dispatch_ptr 0
		.amdhsa_user_sgpr_queue_ptr 0
		.amdhsa_user_sgpr_kernarg_segment_ptr 1
		.amdhsa_user_sgpr_dispatch_id 0
		.amdhsa_user_sgpr_flat_scratch_init 0
		.amdhsa_user_sgpr_private_segment_size 0
		.amdhsa_uses_dynamic_stack 0
		.amdhsa_system_sgpr_private_segment_wavefront_offset 0
		.amdhsa_system_sgpr_workgroup_id_x 1
		.amdhsa_system_sgpr_workgroup_id_y 0
		.amdhsa_system_sgpr_workgroup_id_z 0
		.amdhsa_system_sgpr_workgroup_info 0
		.amdhsa_system_vgpr_workitem_id 0
		.amdhsa_next_free_vgpr 92
		.amdhsa_next_free_sgpr 20
		.amdhsa_reserve_vcc 1
		.amdhsa_reserve_flat_scratch 0
		.amdhsa_float_round_mode_32 0
		.amdhsa_float_round_mode_16_64 0
		.amdhsa_float_denorm_mode_32 3
		.amdhsa_float_denorm_mode_16_64 3
		.amdhsa_dx10_clamp 1
		.amdhsa_ieee_mode 1
		.amdhsa_fp16_overflow 0
		.amdhsa_exception_fp_ieee_invalid_op 0
		.amdhsa_exception_fp_denorm_src 0
		.amdhsa_exception_fp_ieee_div_zero 0
		.amdhsa_exception_fp_ieee_overflow 0
		.amdhsa_exception_fp_ieee_underflow 0
		.amdhsa_exception_fp_ieee_inexact 0
		.amdhsa_exception_int_div_zero 0
	.end_amdhsa_kernel
	.text
.Lfunc_end0:
	.size	bluestein_single_back_len720_dim1_half_op_CI_CI, .Lfunc_end0-bluestein_single_back_len720_dim1_half_op_CI_CI
                                        ; -- End function
	.section	.AMDGPU.csdata,"",@progbits
; Kernel info:
; codeLenInByte = 13348
; NumSgprs: 24
; NumVgprs: 92
; ScratchSize: 0
; MemoryBound: 0
; FloatMode: 240
; IeeeMode: 1
; LDSByteSize: 5760 bytes/workgroup (compile time only)
; SGPRBlocks: 2
; VGPRBlocks: 22
; NumSGPRsForWavesPerEU: 24
; NumVGPRsForWavesPerEU: 92
; Occupancy: 2
; WaveLimiterHint : 1
; COMPUTE_PGM_RSRC2:SCRATCH_EN: 0
; COMPUTE_PGM_RSRC2:USER_SGPR: 6
; COMPUTE_PGM_RSRC2:TRAP_HANDLER: 0
; COMPUTE_PGM_RSRC2:TGID_X_EN: 1
; COMPUTE_PGM_RSRC2:TGID_Y_EN: 0
; COMPUTE_PGM_RSRC2:TGID_Z_EN: 0
; COMPUTE_PGM_RSRC2:TIDIG_COMP_CNT: 0
	.type	__hip_cuid_ee692c1aa9dbbc3d,@object ; @__hip_cuid_ee692c1aa9dbbc3d
	.section	.bss,"aw",@nobits
	.globl	__hip_cuid_ee692c1aa9dbbc3d
__hip_cuid_ee692c1aa9dbbc3d:
	.byte	0                               ; 0x0
	.size	__hip_cuid_ee692c1aa9dbbc3d, 1

	.ident	"AMD clang version 19.0.0git (https://github.com/RadeonOpenCompute/llvm-project roc-6.4.0 25133 c7fe45cf4b819c5991fe208aaa96edf142730f1d)"
	.section	".note.GNU-stack","",@progbits
	.addrsig
	.addrsig_sym __hip_cuid_ee692c1aa9dbbc3d
	.amdgpu_metadata
---
amdhsa.kernels:
  - .args:
      - .actual_access:  read_only
        .address_space:  global
        .offset:         0
        .size:           8
        .value_kind:     global_buffer
      - .actual_access:  read_only
        .address_space:  global
        .offset:         8
        .size:           8
        .value_kind:     global_buffer
      - .actual_access:  read_only
        .address_space:  global
        .offset:         16
        .size:           8
        .value_kind:     global_buffer
      - .actual_access:  read_only
        .address_space:  global
        .offset:         24
        .size:           8
        .value_kind:     global_buffer
      - .actual_access:  read_only
        .address_space:  global
        .offset:         32
        .size:           8
        .value_kind:     global_buffer
      - .offset:         40
        .size:           8
        .value_kind:     by_value
      - .address_space:  global
        .offset:         48
        .size:           8
        .value_kind:     global_buffer
      - .address_space:  global
        .offset:         56
        .size:           8
        .value_kind:     global_buffer
      - .address_space:  global
        .offset:         64
        .size:           8
        .value_kind:     global_buffer
      - .address_space:  global
        .offset:         72
        .size:           8
        .value_kind:     global_buffer
      - .offset:         80
        .size:           4
        .value_kind:     by_value
      - .address_space:  global
        .offset:         88
        .size:           8
        .value_kind:     global_buffer
      - .address_space:  global
        .offset:         96
        .size:           8
        .value_kind:     global_buffer
    .group_segment_fixed_size: 5760
    .kernarg_segment_align: 8
    .kernarg_segment_size: 104
    .language:       OpenCL C
    .language_version:
      - 2
      - 0
    .max_flat_workgroup_size: 240
    .name:           bluestein_single_back_len720_dim1_half_op_CI_CI
    .private_segment_fixed_size: 0
    .sgpr_count:     24
    .sgpr_spill_count: 0
    .symbol:         bluestein_single_back_len720_dim1_half_op_CI_CI.kd
    .uniform_work_group_size: 1
    .uses_dynamic_stack: false
    .vgpr_count:     92
    .vgpr_spill_count: 0
    .wavefront_size: 64
amdhsa.target:   amdgcn-amd-amdhsa--gfx906
amdhsa.version:
  - 1
  - 2
...

	.end_amdgpu_metadata
